;; amdgpu-corpus repo=zjin-lcf/HeCBench kind=compiled arch=gfx1250 opt=O3
	.amdgcn_target "amdgcn-amd-amdhsa--gfx1250"
	.amdhsa_code_object_version 6
	.section	.text._Z31static_scaled_int8_quant_kernelI6__halffEvPKT_PaT0_i,"axG",@progbits,_Z31static_scaled_int8_quant_kernelI6__halffEvPKT_PaT0_i,comdat
	.protected	_Z31static_scaled_int8_quant_kernelI6__halffEvPKT_PaT0_i ; -- Begin function _Z31static_scaled_int8_quant_kernelI6__halffEvPKT_PaT0_i
	.globl	_Z31static_scaled_int8_quant_kernelI6__halffEvPKT_PaT0_i
	.p2align	8
	.type	_Z31static_scaled_int8_quant_kernelI6__halffEvPKT_PaT0_i,@function
_Z31static_scaled_int8_quant_kernelI6__halffEvPKT_PaT0_i: ; @_Z31static_scaled_int8_quant_kernelI6__halffEvPKT_PaT0_i
; %bb.0:
	s_load_b64 s[2:3], s[0:1], 0x10
	s_mov_b32 s4, exec_lo
	s_wait_kmcnt 0x0
	v_cmpx_gt_i32_e64 s3, v0
	s_cbranch_execz .LBB0_3
; %bb.1:
	s_clause 0x1
	s_load_b128 s[8:11], s[0:1], 0x0
	s_load_b32 s12, s[0:1], 0x24
	s_wait_xcnt 0x0
	s_bfe_u32 s0, ttmp6, 0x4000c
	s_and_b32 s4, ttmp6, 15
	s_add_co_i32 s0, s0, 1
	s_getreg_b32 s5, hwreg(HW_REG_IB_STS2, 6, 4)
	s_mul_i32 s0, ttmp9, s0
	s_mov_b32 s1, 0
	s_add_co_i32 s0, s4, s0
	s_cmp_eq_u32 s5, 0
	s_mov_b32 s4, s3
	s_cselect_b32 s0, ttmp9, s0
	s_ashr_i32 s5, s3, 31
	s_delay_alu instid0(SALU_CYCLE_1) | instskip(NEXT) | instid1(SALU_CYCLE_1)
	s_mul_u64 s[4:5], s[4:5], s[0:1]
	s_lshl_b64 s[6:7], s[4:5], 1
	s_wait_kmcnt 0x0
	s_add_nc_u64 s[4:5], s[10:11], s[4:5]
	s_add_nc_u64 s[6:7], s[8:9], s[6:7]
	s_and_b32 s0, s12, 0xffff
.LBB0_2:                                ; =>This Inner Loop Header: Depth=1
	global_load_u16 v1, v0, s[6:7] scale_offset
	s_wait_loadcnt 0x0
	v_cvt_f32_f16_e32 v1, v1
	s_delay_alu instid0(VALU_DEP_1) | instskip(SKIP_1) | instid1(VALU_DEP_2)
	v_div_scale_f32 v2, null, s2, s2, v1
	v_div_scale_f32 v5, vcc_lo, v1, s2, v1
	v_rcp_f32_e32 v3, v2
	v_nop
	s_delay_alu instid0(TRANS32_DEP_1) | instskip(NEXT) | instid1(VALU_DEP_1)
	v_fma_f32 v4, -v2, v3, 1.0
	v_fmac_f32_e32 v3, v4, v3
	s_delay_alu instid0(VALU_DEP_1) | instskip(NEXT) | instid1(VALU_DEP_1)
	v_mul_f32_e32 v4, v5, v3
	v_fma_f32 v6, -v2, v4, v5
	s_delay_alu instid0(VALU_DEP_1) | instskip(NEXT) | instid1(VALU_DEP_1)
	v_fmac_f32_e32 v4, v6, v3
	v_fma_f32 v2, -v2, v4, v5
	s_delay_alu instid0(VALU_DEP_1) | instskip(NEXT) | instid1(VALU_DEP_1)
	v_div_fmas_f32 v2, v2, v3, v4
	v_div_fixup_f32 v1, v2, s2, v1
	s_delay_alu instid0(VALU_DEP_1) | instskip(NEXT) | instid1(VALU_DEP_1)
	v_rndne_f32_e32 v1, v1
	v_cmp_nlt_f32_e32 vcc_lo, 0x42fe0000, v1
	v_cndmask_b32_e32 v2, 0x42fe0000, v1, vcc_lo
	v_cmp_ngt_f32_e32 vcc_lo, 0xc3000000, v1
	s_delay_alu instid0(VALU_DEP_2) | instskip(NEXT) | instid1(VALU_DEP_1)
	v_cndmask_b32_e32 v1, 0xc3000000, v2, vcc_lo
	v_cvt_i32_f32_e32 v1, v1
	global_store_b8 v0, v1, s[4:5]
	s_wait_xcnt 0x0
	v_add_nc_u32_e32 v0, s0, v0
	s_delay_alu instid0(VALU_DEP_1) | instskip(SKIP_1) | instid1(SALU_CYCLE_1)
	v_cmp_le_i32_e32 vcc_lo, s3, v0
	s_or_b32 s1, vcc_lo, s1
	s_and_not1_b32 exec_lo, exec_lo, s1
	s_cbranch_execnz .LBB0_2
.LBB0_3:
	s_endpgm
	.section	.rodata,"a",@progbits
	.p2align	6, 0x0
	.amdhsa_kernel _Z31static_scaled_int8_quant_kernelI6__halffEvPKT_PaT0_i
		.amdhsa_group_segment_fixed_size 0
		.amdhsa_private_segment_fixed_size 0
		.amdhsa_kernarg_size 280
		.amdhsa_user_sgpr_count 2
		.amdhsa_user_sgpr_dispatch_ptr 0
		.amdhsa_user_sgpr_queue_ptr 0
		.amdhsa_user_sgpr_kernarg_segment_ptr 1
		.amdhsa_user_sgpr_dispatch_id 0
		.amdhsa_user_sgpr_kernarg_preload_length 0
		.amdhsa_user_sgpr_kernarg_preload_offset 0
		.amdhsa_user_sgpr_private_segment_size 0
		.amdhsa_wavefront_size32 1
		.amdhsa_uses_dynamic_stack 0
		.amdhsa_enable_private_segment 0
		.amdhsa_system_sgpr_workgroup_id_x 1
		.amdhsa_system_sgpr_workgroup_id_y 0
		.amdhsa_system_sgpr_workgroup_id_z 0
		.amdhsa_system_sgpr_workgroup_info 0
		.amdhsa_system_vgpr_workitem_id 0
		.amdhsa_next_free_vgpr 7
		.amdhsa_next_free_sgpr 13
		.amdhsa_named_barrier_count 0
		.amdhsa_reserve_vcc 1
		.amdhsa_float_round_mode_32 0
		.amdhsa_float_round_mode_16_64 0
		.amdhsa_float_denorm_mode_32 3
		.amdhsa_float_denorm_mode_16_64 3
		.amdhsa_fp16_overflow 0
		.amdhsa_memory_ordered 1
		.amdhsa_forward_progress 1
		.amdhsa_inst_pref_size 3
		.amdhsa_round_robin_scheduling 0
		.amdhsa_exception_fp_ieee_invalid_op 0
		.amdhsa_exception_fp_denorm_src 0
		.amdhsa_exception_fp_ieee_div_zero 0
		.amdhsa_exception_fp_ieee_overflow 0
		.amdhsa_exception_fp_ieee_underflow 0
		.amdhsa_exception_fp_ieee_inexact 0
		.amdhsa_exception_int_div_zero 0
	.end_amdhsa_kernel
	.section	.text._Z31static_scaled_int8_quant_kernelI6__halffEvPKT_PaT0_i,"axG",@progbits,_Z31static_scaled_int8_quant_kernelI6__halffEvPKT_PaT0_i,comdat
.Lfunc_end0:
	.size	_Z31static_scaled_int8_quant_kernelI6__halffEvPKT_PaT0_i, .Lfunc_end0-_Z31static_scaled_int8_quant_kernelI6__halffEvPKT_PaT0_i
                                        ; -- End function
	.set _Z31static_scaled_int8_quant_kernelI6__halffEvPKT_PaT0_i.num_vgpr, 7
	.set _Z31static_scaled_int8_quant_kernelI6__halffEvPKT_PaT0_i.num_agpr, 0
	.set _Z31static_scaled_int8_quant_kernelI6__halffEvPKT_PaT0_i.numbered_sgpr, 13
	.set _Z31static_scaled_int8_quant_kernelI6__halffEvPKT_PaT0_i.num_named_barrier, 0
	.set _Z31static_scaled_int8_quant_kernelI6__halffEvPKT_PaT0_i.private_seg_size, 0
	.set _Z31static_scaled_int8_quant_kernelI6__halffEvPKT_PaT0_i.uses_vcc, 1
	.set _Z31static_scaled_int8_quant_kernelI6__halffEvPKT_PaT0_i.uses_flat_scratch, 0
	.set _Z31static_scaled_int8_quant_kernelI6__halffEvPKT_PaT0_i.has_dyn_sized_stack, 0
	.set _Z31static_scaled_int8_quant_kernelI6__halffEvPKT_PaT0_i.has_recursion, 0
	.set _Z31static_scaled_int8_quant_kernelI6__halffEvPKT_PaT0_i.has_indirect_call, 0
	.section	.AMDGPU.csdata,"",@progbits
; Kernel info:
; codeLenInByte = 340
; TotalNumSgprs: 15
; NumVgprs: 7
; ScratchSize: 0
; MemoryBound: 0
; FloatMode: 240
; IeeeMode: 1
; LDSByteSize: 0 bytes/workgroup (compile time only)
; SGPRBlocks: 0
; VGPRBlocks: 0
; NumSGPRsForWavesPerEU: 15
; NumVGPRsForWavesPerEU: 7
; NamedBarCnt: 0
; Occupancy: 16
; WaveLimiterHint : 0
; COMPUTE_PGM_RSRC2:SCRATCH_EN: 0
; COMPUTE_PGM_RSRC2:USER_SGPR: 2
; COMPUTE_PGM_RSRC2:TRAP_HANDLER: 0
; COMPUTE_PGM_RSRC2:TGID_X_EN: 1
; COMPUTE_PGM_RSRC2:TGID_Y_EN: 0
; COMPUTE_PGM_RSRC2:TGID_Z_EN: 0
; COMPUTE_PGM_RSRC2:TIDIG_COMP_CNT: 0
	.section	.text._Z35static_scaled_int8_azp_quant_kernelI6__halffiEvPKT_PaT0_T1_i,"axG",@progbits,_Z35static_scaled_int8_azp_quant_kernelI6__halffiEvPKT_PaT0_T1_i,comdat
	.protected	_Z35static_scaled_int8_azp_quant_kernelI6__halffiEvPKT_PaT0_T1_i ; -- Begin function _Z35static_scaled_int8_azp_quant_kernelI6__halffiEvPKT_PaT0_T1_i
	.globl	_Z35static_scaled_int8_azp_quant_kernelI6__halffiEvPKT_PaT0_T1_i
	.p2align	8
	.type	_Z35static_scaled_int8_azp_quant_kernelI6__halffiEvPKT_PaT0_T1_i,@function
_Z35static_scaled_int8_azp_quant_kernelI6__halffiEvPKT_PaT0_T1_i: ; @_Z35static_scaled_int8_azp_quant_kernelI6__halffiEvPKT_PaT0_T1_i
; %bb.0:
	s_load_b96 s[4:6], s[0:1], 0x10
	s_mov_b32 s2, exec_lo
	s_wait_kmcnt 0x0
	v_cmpx_gt_i32_e64 s6, v0
	s_cbranch_execz .LBB1_7
; %bb.1:
	s_clause 0x1
	s_load_b128 s[8:11], s[0:1], 0x0
	s_load_b32 s7, s[0:1], 0x2c
	s_wait_xcnt 0x0
	s_bfe_u32 s0, ttmp6, 0x4000c
	s_and_b32 s2, ttmp6, 15
	s_add_co_i32 s0, s0, 1
	s_getreg_b32 s3, hwreg(HW_REG_IB_STS2, 6, 4)
	s_mul_i32 s0, ttmp9, s0
	s_mov_b32 s1, 0
	s_add_co_i32 s0, s2, s0
	s_cmp_eq_u32 s3, 0
	s_mov_b32 s2, s6
	s_cselect_b32 s0, ttmp9, s0
	s_ashr_i32 s3, s6, 31
	s_delay_alu instid0(SALU_CYCLE_1) | instskip(NEXT) | instid1(SALU_CYCLE_1)
	s_mul_u64 s[2:3], s[2:3], s[0:1]
	s_lshl_b64 s[12:13], s[2:3], 1
	s_wait_kmcnt 0x0
	s_add_nc_u64 s[2:3], s[10:11], s[2:3]
	s_add_nc_u64 s[8:9], s[8:9], s[12:13]
	s_and_b32 s0, s7, 0xffff
	s_movk_i32 s7, 0xff80
	s_branch .LBB1_4
.LBB1_2:                                ;   in Loop: Header=BB1_4 Depth=1
	s_or_b32 exec_lo, exec_lo, s11
.LBB1_3:                                ;   in Loop: Header=BB1_4 Depth=1
	s_delay_alu instid0(SALU_CYCLE_1) | instskip(SKIP_1) | instid1(VALU_DEP_1)
	s_or_b32 exec_lo, exec_lo, s10
	v_ashrrev_i32_e32 v1, 31, v0
	v_add_nc_u64_e32 v[4:5], s[2:3], v[0:1]
	v_dual_add_nc_u32 v0, s0, v0 :: v_dual_add_nc_u32 v1, s5, v2
	s_delay_alu instid0(VALU_DEP_1) | instskip(NEXT) | instid1(VALU_DEP_2)
	v_cmp_le_i32_e32 vcc_lo, s6, v0
	v_med3_i32 v1, v1, s7, 0x7f
	s_or_b32 s1, vcc_lo, s1
	global_store_b8 v[4:5], v1, off
	s_wait_xcnt 0x0
	s_and_not1_b32 exec_lo, exec_lo, s1
	s_cbranch_execz .LBB1_7
.LBB1_4:                                ; =>This Inner Loop Header: Depth=1
	global_load_u16 v1, v0, s[8:9] scale_offset
	s_mov_b32 s10, exec_lo
	s_wait_loadcnt 0x0
	v_cvt_f32_f16_e32 v1, v1
	s_delay_alu instid0(VALU_DEP_1) | instskip(SKIP_1) | instid1(VALU_DEP_2)
	v_div_scale_f32 v2, null, s4, s4, v1
	v_div_scale_f32 v5, vcc_lo, v1, s4, v1
	v_rcp_f32_e32 v3, v2
	v_nop
	s_delay_alu instid0(TRANS32_DEP_1) | instskip(NEXT) | instid1(VALU_DEP_1)
	v_fma_f32 v4, -v2, v3, 1.0
	v_fmac_f32_e32 v3, v4, v3
	s_delay_alu instid0(VALU_DEP_1) | instskip(NEXT) | instid1(VALU_DEP_1)
	v_mul_f32_e32 v4, v5, v3
	v_fma_f32 v6, -v2, v4, v5
	s_delay_alu instid0(VALU_DEP_1) | instskip(NEXT) | instid1(VALU_DEP_1)
	v_fmac_f32_e32 v4, v6, v3
	v_fma_f32 v2, -v2, v4, v5
	s_delay_alu instid0(VALU_DEP_1) | instskip(NEXT) | instid1(VALU_DEP_1)
	v_div_fmas_f32 v2, v2, v3, v4
	v_div_fixup_f32 v1, v2, s4, v1
	v_bfrev_b32_e32 v2, -2
	s_delay_alu instid0(VALU_DEP_2) | instskip(SKIP_1) | instid1(VALU_DEP_1)
	v_rndne_f32_e32 v1, v1
	s_wait_xcnt 0x0
	v_cmpx_nle_f32_e32 0x4f000000, v1
	s_cbranch_execz .LBB1_3
; %bb.5:                                ;   in Loop: Header=BB1_4 Depth=1
	v_bfrev_b32_e32 v2, 1
	s_mov_b32 s11, exec_lo
	v_cmpx_nge_f32_e32 0xcf000000, v1
	s_cbranch_execz .LBB1_2
; %bb.6:                                ;   in Loop: Header=BB1_4 Depth=1
	v_cvt_i32_f32_e32 v2, v1
	s_branch .LBB1_2
.LBB1_7:
	s_endpgm
	.section	.rodata,"a",@progbits
	.p2align	6, 0x0
	.amdhsa_kernel _Z35static_scaled_int8_azp_quant_kernelI6__halffiEvPKT_PaT0_T1_i
		.amdhsa_group_segment_fixed_size 0
		.amdhsa_private_segment_fixed_size 0
		.amdhsa_kernarg_size 288
		.amdhsa_user_sgpr_count 2
		.amdhsa_user_sgpr_dispatch_ptr 0
		.amdhsa_user_sgpr_queue_ptr 0
		.amdhsa_user_sgpr_kernarg_segment_ptr 1
		.amdhsa_user_sgpr_dispatch_id 0
		.amdhsa_user_sgpr_kernarg_preload_length 0
		.amdhsa_user_sgpr_kernarg_preload_offset 0
		.amdhsa_user_sgpr_private_segment_size 0
		.amdhsa_wavefront_size32 1
		.amdhsa_uses_dynamic_stack 0
		.amdhsa_enable_private_segment 0
		.amdhsa_system_sgpr_workgroup_id_x 1
		.amdhsa_system_sgpr_workgroup_id_y 0
		.amdhsa_system_sgpr_workgroup_id_z 0
		.amdhsa_system_sgpr_workgroup_info 0
		.amdhsa_system_vgpr_workitem_id 0
		.amdhsa_next_free_vgpr 7
		.amdhsa_next_free_sgpr 14
		.amdhsa_named_barrier_count 0
		.amdhsa_reserve_vcc 1
		.amdhsa_float_round_mode_32 0
		.amdhsa_float_round_mode_16_64 0
		.amdhsa_float_denorm_mode_32 3
		.amdhsa_float_denorm_mode_16_64 3
		.amdhsa_fp16_overflow 0
		.amdhsa_memory_ordered 1
		.amdhsa_forward_progress 1
		.amdhsa_inst_pref_size 4
		.amdhsa_round_robin_scheduling 0
		.amdhsa_exception_fp_ieee_invalid_op 0
		.amdhsa_exception_fp_denorm_src 0
		.amdhsa_exception_fp_ieee_div_zero 0
		.amdhsa_exception_fp_ieee_overflow 0
		.amdhsa_exception_fp_ieee_underflow 0
		.amdhsa_exception_fp_ieee_inexact 0
		.amdhsa_exception_int_div_zero 0
	.end_amdhsa_kernel
	.section	.text._Z35static_scaled_int8_azp_quant_kernelI6__halffiEvPKT_PaT0_T1_i,"axG",@progbits,_Z35static_scaled_int8_azp_quant_kernelI6__halffiEvPKT_PaT0_T1_i,comdat
.Lfunc_end1:
	.size	_Z35static_scaled_int8_azp_quant_kernelI6__halffiEvPKT_PaT0_T1_i, .Lfunc_end1-_Z35static_scaled_int8_azp_quant_kernelI6__halffiEvPKT_PaT0_T1_i
                                        ; -- End function
	.set _Z35static_scaled_int8_azp_quant_kernelI6__halffiEvPKT_PaT0_T1_i.num_vgpr, 7
	.set _Z35static_scaled_int8_azp_quant_kernelI6__halffiEvPKT_PaT0_T1_i.num_agpr, 0
	.set _Z35static_scaled_int8_azp_quant_kernelI6__halffiEvPKT_PaT0_T1_i.numbered_sgpr, 14
	.set _Z35static_scaled_int8_azp_quant_kernelI6__halffiEvPKT_PaT0_T1_i.num_named_barrier, 0
	.set _Z35static_scaled_int8_azp_quant_kernelI6__halffiEvPKT_PaT0_T1_i.private_seg_size, 0
	.set _Z35static_scaled_int8_azp_quant_kernelI6__halffiEvPKT_PaT0_T1_i.uses_vcc, 1
	.set _Z35static_scaled_int8_azp_quant_kernelI6__halffiEvPKT_PaT0_T1_i.uses_flat_scratch, 0
	.set _Z35static_scaled_int8_azp_quant_kernelI6__halffiEvPKT_PaT0_T1_i.has_dyn_sized_stack, 0
	.set _Z35static_scaled_int8_azp_quant_kernelI6__halffiEvPKT_PaT0_T1_i.has_recursion, 0
	.set _Z35static_scaled_int8_azp_quant_kernelI6__halffiEvPKT_PaT0_T1_i.has_indirect_call, 0
	.section	.AMDGPU.csdata,"",@progbits
; Kernel info:
; codeLenInByte = 400
; TotalNumSgprs: 16
; NumVgprs: 7
; ScratchSize: 0
; MemoryBound: 0
; FloatMode: 240
; IeeeMode: 1
; LDSByteSize: 0 bytes/workgroup (compile time only)
; SGPRBlocks: 0
; VGPRBlocks: 0
; NumSGPRsForWavesPerEU: 16
; NumVGPRsForWavesPerEU: 7
; NamedBarCnt: 0
; Occupancy: 16
; WaveLimiterHint : 0
; COMPUTE_PGM_RSRC2:SCRATCH_EN: 0
; COMPUTE_PGM_RSRC2:USER_SGPR: 2
; COMPUTE_PGM_RSRC2:TRAP_HANDLER: 0
; COMPUTE_PGM_RSRC2:TGID_X_EN: 1
; COMPUTE_PGM_RSRC2:TGID_Y_EN: 0
; COMPUTE_PGM_RSRC2:TGID_Z_EN: 0
; COMPUTE_PGM_RSRC2:TIDIG_COMP_CNT: 0
	.section	.text._Z32dynamic_scaled_int8_quant_kernelI6__halffEvPKT_PaPT0_i,"axG",@progbits,_Z32dynamic_scaled_int8_quant_kernelI6__halffEvPKT_PaPT0_i,comdat
	.protected	_Z32dynamic_scaled_int8_quant_kernelI6__halffEvPKT_PaPT0_i ; -- Begin function _Z32dynamic_scaled_int8_quant_kernelI6__halffEvPKT_PaPT0_i
	.globl	_Z32dynamic_scaled_int8_quant_kernelI6__halffEvPKT_PaPT0_i
	.p2align	8
	.type	_Z32dynamic_scaled_int8_quant_kernelI6__halffEvPKT_PaPT0_i,@function
_Z32dynamic_scaled_int8_quant_kernelI6__halffEvPKT_PaPT0_i: ; @_Z32dynamic_scaled_int8_quant_kernelI6__halffEvPKT_PaPT0_i
; %bb.0:
	s_clause 0x1
	s_load_b32 s6, s[0:1], 0x18
	s_load_b64 s[4:5], s[0:1], 0x0
	s_bfe_u32 s2, ttmp6, 0x4000c
	s_and_b32 s3, ttmp6, 15
	s_add_co_i32 s2, s2, 1
	s_getreg_b32 s7, hwreg(HW_REG_IB_STS2, 6, 4)
	s_mul_i32 s2, ttmp9, s2
	s_mov_b32 s13, 0
	s_add_co_i32 s3, s3, s2
	s_cmp_eq_u32 s7, 0
	s_add_nc_u64 s[14:15], s[0:1], 32
	s_cselect_b32 s12, ttmp9, s3
                                        ; implicit-def: $sgpr3
	s_wait_kmcnt 0x0
	s_ashr_i32 s7, s6, 31
	v_cmp_gt_i32_e64 s2, s6, v0
	s_mul_u64 s[10:11], s[6:7], s[12:13]
	s_mov_b32 s7, exec_lo
	s_lshl_b64 s[8:9], s[10:11], 1
	v_cmpx_le_i32_e64 s6, v0
	s_xor_b32 s7, exec_lo, s7
	s_cbranch_execz .LBB2_2
; %bb.1:
	s_load_b32 s3, s[14:15], 0xc
	s_wait_kmcnt 0x0
	s_and_b32 s3, s3, 0xffff
.LBB2_2:
	s_or_saveexec_b32 s7, s7
	v_dual_mov_b32 v2, 0 :: v_dual_mov_b32 v1, s3
	s_add_nc_u64 s[8:9], s[4:5], s[8:9]
	s_xor_b32 exec_lo, exec_lo, s7
	s_cbranch_execz .LBB2_6
; %bb.3:
	s_load_b32 s3, s[14:15], 0xc
	v_dual_mov_b32 v2, 0 :: v_dual_mov_b32 v1, v0
	s_mov_b32 s5, 0
	s_wait_kmcnt 0x0
	s_and_b32 s4, s3, 0xffff
.LBB2_4:                                ; =>This Inner Loop Header: Depth=1
	global_load_u16 v3, v1, s[8:9] scale_offset
	s_wait_loadcnt 0x0
	v_cvt_f32_f16_e32 v4, v3
	v_cmp_lt_f16_e32 vcc_lo, 0, v3
	s_delay_alu instid0(VALU_DEP_2) | instskip(NEXT) | instid1(VALU_DEP_1)
	v_dual_add_nc_u32 v1, s4, v1 :: v_dual_cndmask_b32 v3, -v4, v4, vcc_lo
	v_cmp_le_i32_e32 vcc_lo, s6, v1
	s_delay_alu instid0(VALU_DEP_2)
	v_cmp_gt_f32_e64 s3, v3, v2
	s_or_b32 s5, vcc_lo, s5
	v_cndmask_b32_e64 v2, v2, v3, s3
	s_and_not1_b32 exec_lo, exec_lo, s5
	s_cbranch_execnz .LBB2_4
; %bb.5:
	s_or_b32 exec_lo, exec_lo, s5
	v_mov_b32_e32 v1, s4
.LBB2_6:
	s_or_b32 exec_lo, exec_lo, s7
	v_mbcnt_lo_u32_b32 v3, -1, 0
	s_load_b64 s[14:15], s[0:1], 0x8
	s_delay_alu instid0(VALU_DEP_1) | instskip(SKIP_3) | instid1(VALU_DEP_3)
	v_cmp_ne_u32_e32 vcc_lo, 31, v3
	v_cmp_gt_u32_e64 s3, 28, v3
	v_add_co_ci_u32_e64 v4, null, 0, v3, vcc_lo
	v_cmp_gt_u32_e32 vcc_lo, 30, v3
	v_cndmask_b32_e64 v10, 0, 4, s3
	s_delay_alu instid0(VALU_DEP_3) | instskip(SKIP_2) | instid1(VALU_DEP_2)
	v_lshlrev_b32_e32 v5, 2, v4
	v_and_b32_e32 v4, 0x3e0, v0
	v_cndmask_b32_e64 v7, 0, 2, vcc_lo
	v_sub_nc_u32_e64 v14, v1, v4 clamp
	v_add_nc_u32_e32 v4, 1, v3
	ds_bpermute_b32 v6, v5, v2
	v_add_lshl_u32 v7, v7, v3, 2
	s_wait_dscnt 0x0
	v_cmp_lt_f32_e32 vcc_lo, v2, v6
	v_cndmask_b32_e32 v6, v2, v6, vcc_lo
	v_cmp_lt_u32_e32 vcc_lo, v4, v14
	s_delay_alu instid0(VALU_DEP_2) | instskip(SKIP_3) | instid1(VALU_DEP_1)
	v_dual_cndmask_b32 v8, v2, v6, vcc_lo :: v_dual_add_nc_u32 v6, 2, v3
	ds_bpermute_b32 v9, v7, v8
	s_wait_dscnt 0x0
	v_cmp_lt_f32_e64 s3, v8, v9
	v_cndmask_b32_e64 v11, v8, v9, s3
	v_cmp_lt_u32_e64 s3, v6, v14
	v_add_lshl_u32 v9, v10, v3, 2
	s_delay_alu instid0(VALU_DEP_2)
	v_cndmask_b32_e64 v10, v8, v11, s3
	v_cmp_gt_u32_e64 s3, 24, v3
	ds_bpermute_b32 v11, v9, v10
	v_cndmask_b32_e64 v12, 0, 8, s3
	s_wait_dscnt 0x0
	v_cmp_lt_f32_e64 s3, v10, v11
	s_delay_alu instid0(VALU_DEP_1) | instskip(SKIP_2) | instid1(VALU_DEP_2)
	v_cndmask_b32_e64 v13, v10, v11, s3
	v_add_nc_u32_e32 v8, 4, v3
	v_add_lshl_u32 v11, v12, v3, 2
	v_cmp_lt_u32_e64 s3, v8, v14
	s_delay_alu instid0(VALU_DEP_1) | instskip(SKIP_3) | instid1(VALU_DEP_1)
	v_dual_cndmask_b32 v13, v10, v13, s3 :: v_dual_add_nc_u32 v10, 8, v3
	ds_bpermute_b32 v12, v11, v13
	s_wait_dscnt 0x0
	v_cmp_lt_f32_e64 s3, v13, v12
	v_cndmask_b32_e64 v15, v13, v12, s3
	v_cmp_lt_u32_e64 s3, v10, v14
	v_lshl_or_b32 v12, v3, 2, 64
	s_delay_alu instid0(VALU_DEP_2)
	v_cndmask_b32_e64 v15, v13, v15, s3
	v_add_nc_u32_e32 v13, 16, v3
	ds_bpermute_b32 v16, v12, v15
	v_cmp_lt_u32_e64 s3, v13, v14
	s_wait_dscnt 0x0
	v_cmp_lt_f32_e64 s4, v15, v16
	s_and_b32 s3, s3, s4
	s_delay_alu instid0(SALU_CYCLE_1) | instskip(SKIP_1) | instid1(VALU_DEP_1)
	v_cndmask_b32_e64 v14, v15, v16, s3
	s_mov_b32 s3, exec_lo
	v_cndmask_b32_e32 v2, v2, v14, vcc_lo
	v_cmpx_eq_u32_e32 0, v3
; %bb.7:
	v_lshrrev_b32_e32 v14, 3, v0
	s_delay_alu instid0(VALU_DEP_1)
	v_and_b32_e32 v14, 0x7c, v14
	ds_store_b32 v14, v2
; %bb.8:
	s_or_b32 exec_lo, exec_lo, s3
	s_delay_alu instid0(SALU_CYCLE_1)
	s_mov_b32 s5, exec_lo
	s_wait_dscnt 0x0
	s_barrier_signal -1
	s_barrier_wait -1
	v_cmpx_gt_u32_e32 32, v0
	s_cbranch_execz .LBB2_10
; %bb.9:
	v_lshlrev_b32_e32 v2, 2, v3
	ds_load_b32 v2, v2
	s_wait_dscnt 0x0
	ds_bpermute_b32 v3, v5, v2
	v_add_nc_u32_e32 v5, 31, v1
	s_wait_dscnt 0x0
	v_cmp_lt_f32_e32 vcc_lo, v2, v3
	s_delay_alu instid0(VALU_DEP_2) | instskip(NEXT) | instid1(VALU_DEP_1)
	v_dual_lshrrev_b32 v5, 5, v5 :: v_dual_cndmask_b32 v3, v2, v3, vcc_lo
	v_cmp_lt_u32_e32 vcc_lo, v4, v5
	s_delay_alu instid0(VALU_DEP_2) | instskip(SKIP_3) | instid1(VALU_DEP_1)
	v_cndmask_b32_e32 v3, v2, v3, vcc_lo
	ds_bpermute_b32 v4, v7, v3
	s_wait_dscnt 0x0
	v_cmp_lt_f32_e64 s3, v3, v4
	v_cndmask_b32_e64 v4, v3, v4, s3
	v_cmp_lt_u32_e64 s3, v6, v5
	s_delay_alu instid0(VALU_DEP_1) | instskip(SKIP_3) | instid1(VALU_DEP_1)
	v_cndmask_b32_e64 v3, v3, v4, s3
	ds_bpermute_b32 v4, v9, v3
	s_wait_dscnt 0x0
	v_cmp_lt_f32_e64 s3, v3, v4
	v_cndmask_b32_e64 v4, v3, v4, s3
	v_cmp_lt_u32_e64 s3, v8, v5
	s_delay_alu instid0(VALU_DEP_1) | instskip(SKIP_3) | instid1(VALU_DEP_1)
	v_cndmask_b32_e64 v3, v3, v4, s3
	ds_bpermute_b32 v4, v11, v3
	s_wait_dscnt 0x0
	v_cmp_lt_f32_e64 s3, v3, v4
	v_cndmask_b32_e64 v4, v3, v4, s3
	v_cmp_lt_u32_e64 s3, v10, v5
	s_delay_alu instid0(VALU_DEP_1)
	v_cndmask_b32_e64 v3, v3, v4, s3
	v_cmp_lt_u32_e64 s3, v13, v5
	ds_bpermute_b32 v4, v12, v3
	s_wait_dscnt 0x0
	v_cmp_lt_f32_e64 s4, v3, v4
	s_and_b32 s3, s3, s4
	s_delay_alu instid0(SALU_CYCLE_1) | instskip(NEXT) | instid1(VALU_DEP_1)
	v_cndmask_b32_e64 v3, v3, v4, s3
	v_cndmask_b32_e32 v2, v2, v3, vcc_lo
.LBB2_10:
	s_or_b32 exec_lo, exec_lo, s5
	s_delay_alu instid0(SALU_CYCLE_1)
	s_mov_b32 s3, exec_lo
	v_cmpx_eq_u32_e32 0, v0
	s_cbranch_execz .LBB2_12
; %bb.11:
	v_div_scale_f32 v3, null, 0x42fe0000, 0x42fe0000, v2
	s_wait_xcnt 0x0
	s_load_b64 s[0:1], s[0:1], 0x10
	s_lshl_b64 s[4:5], s[12:13], 2
	s_delay_alu instid0(VALU_DEP_1) | instskip(SKIP_1) | instid1(TRANS32_DEP_1)
	v_rcp_f32_e32 v4, v3
	v_nop
	v_fma_f32 v5, -v3, v4, 1.0
	s_delay_alu instid0(VALU_DEP_1) | instskip(SKIP_3) | instid1(VALU_DEP_1)
	v_fmac_f32_e32 v4, v5, v4
	v_div_scale_f32 v5, vcc_lo, v2, 0x42fe0000, v2
	s_wait_kmcnt 0x0
	s_add_nc_u64 s[0:1], s[0:1], s[4:5]
	v_mul_f32_e32 v6, v5, v4
	s_delay_alu instid0(VALU_DEP_1) | instskip(NEXT) | instid1(VALU_DEP_1)
	v_fma_f32 v7, -v3, v6, v5
	v_fmac_f32_e32 v6, v7, v4
	s_delay_alu instid0(VALU_DEP_1) | instskip(NEXT) | instid1(VALU_DEP_1)
	v_fma_f32 v3, -v3, v6, v5
	v_div_fmas_f32 v3, v3, v4, v6
	v_mov_b32_e32 v4, 0
	s_delay_alu instid0(VALU_DEP_2)
	v_div_fixup_f32 v3, v3, 0x42fe0000, v2
	ds_store_b32 v4, v2 offset:128
	global_store_b32 v4, v3, s[0:1]
.LBB2_12:
	s_wait_xcnt 0x0
	s_or_b32 exec_lo, exec_lo, s3
	s_wait_storecnt_dscnt 0x0
	s_barrier_signal -1
	s_barrier_wait -1
	s_and_saveexec_b32 s0, s2
	s_cbranch_execz .LBB2_15
; %bb.13:
	v_mov_b32_e32 v2, 0
	s_wait_kmcnt 0x0
	s_add_nc_u64 s[0:1], s[14:15], s[10:11]
	s_mov_b32 s2, 0
	ds_load_b32 v2, v2 offset:128
	s_wait_dscnt 0x0
	v_div_scale_f32 v3, null, v2, v2, 0x42fe0000
	s_delay_alu instid0(VALU_DEP_1)
	v_rcp_f32_e32 v4, v3
	v_nop
	v_xor_b32_e32 v3, 0x80000000, v3
	s_delay_alu instid0(TRANS32_DEP_1) | instid1(VALU_DEP_1)
	v_fma_f32 v5, v3, v4, 1.0
	s_delay_alu instid0(VALU_DEP_1) | instskip(SKIP_1) | instid1(VALU_DEP_1)
	v_fmac_f32_e32 v4, v5, v4
	v_div_scale_f32 v5, vcc_lo, 0x42fe0000, v2, 0x42fe0000
	v_mul_f32_e32 v6, v5, v4
	s_delay_alu instid0(VALU_DEP_1) | instskip(NEXT) | instid1(VALU_DEP_1)
	v_fma_f32 v7, v3, v6, v5
	v_fmac_f32_e32 v6, v7, v4
	s_delay_alu instid0(VALU_DEP_1) | instskip(NEXT) | instid1(VALU_DEP_1)
	v_fmac_f32_e32 v5, v3, v6
	v_div_fmas_f32 v3, v5, v4, v6
	s_delay_alu instid0(VALU_DEP_1)
	v_div_fixup_f32 v2, v3, v2, 0x42fe0000
.LBB2_14:                               ; =>This Inner Loop Header: Depth=1
	global_load_u16 v3, v0, s[8:9] scale_offset
	s_wait_loadcnt 0x0
	v_cvt_f32_f16_e32 v3, v3
	s_delay_alu instid0(VALU_DEP_1) | instskip(NEXT) | instid1(VALU_DEP_1)
	v_mul_f32_e32 v3, v2, v3
	v_rndne_f32_e32 v3, v3
	s_delay_alu instid0(VALU_DEP_1) | instskip(SKIP_2) | instid1(VALU_DEP_2)
	v_cmp_nlt_f32_e32 vcc_lo, 0x42fe0000, v3
	v_cndmask_b32_e32 v4, 0x42fe0000, v3, vcc_lo
	v_cmp_ngt_f32_e32 vcc_lo, 0xc3000000, v3
	v_cndmask_b32_e32 v3, 0xc3000000, v4, vcc_lo
	s_delay_alu instid0(VALU_DEP_1) | instskip(SKIP_3) | instid1(VALU_DEP_1)
	v_cvt_i32_f32_e32 v3, v3
	global_store_b8 v0, v3, s[0:1]
	s_wait_xcnt 0x0
	v_add_nc_u32_e32 v0, v0, v1
	v_cmp_le_i32_e32 vcc_lo, s6, v0
	s_or_b32 s2, vcc_lo, s2
	s_delay_alu instid0(SALU_CYCLE_1)
	s_and_not1_b32 exec_lo, exec_lo, s2
	s_cbranch_execnz .LBB2_14
.LBB2_15:
	s_endpgm
	.section	.rodata,"a",@progbits
	.p2align	6, 0x0
	.amdhsa_kernel _Z32dynamic_scaled_int8_quant_kernelI6__halffEvPKT_PaPT0_i
		.amdhsa_group_segment_fixed_size 132
		.amdhsa_private_segment_fixed_size 0
		.amdhsa_kernarg_size 288
		.amdhsa_user_sgpr_count 2
		.amdhsa_user_sgpr_dispatch_ptr 0
		.amdhsa_user_sgpr_queue_ptr 0
		.amdhsa_user_sgpr_kernarg_segment_ptr 1
		.amdhsa_user_sgpr_dispatch_id 0
		.amdhsa_user_sgpr_kernarg_preload_length 0
		.amdhsa_user_sgpr_kernarg_preload_offset 0
		.amdhsa_user_sgpr_private_segment_size 0
		.amdhsa_wavefront_size32 1
		.amdhsa_uses_dynamic_stack 0
		.amdhsa_enable_private_segment 0
		.amdhsa_system_sgpr_workgroup_id_x 1
		.amdhsa_system_sgpr_workgroup_id_y 0
		.amdhsa_system_sgpr_workgroup_id_z 0
		.amdhsa_system_sgpr_workgroup_info 0
		.amdhsa_system_vgpr_workitem_id 0
		.amdhsa_next_free_vgpr 17
		.amdhsa_next_free_sgpr 16
		.amdhsa_named_barrier_count 0
		.amdhsa_reserve_vcc 1
		.amdhsa_float_round_mode_32 0
		.amdhsa_float_round_mode_16_64 0
		.amdhsa_float_denorm_mode_32 3
		.amdhsa_float_denorm_mode_16_64 3
		.amdhsa_fp16_overflow 0
		.amdhsa_memory_ordered 1
		.amdhsa_forward_progress 1
		.amdhsa_inst_pref_size 12
		.amdhsa_round_robin_scheduling 0
		.amdhsa_exception_fp_ieee_invalid_op 0
		.amdhsa_exception_fp_denorm_src 0
		.amdhsa_exception_fp_ieee_div_zero 0
		.amdhsa_exception_fp_ieee_overflow 0
		.amdhsa_exception_fp_ieee_underflow 0
		.amdhsa_exception_fp_ieee_inexact 0
		.amdhsa_exception_int_div_zero 0
	.end_amdhsa_kernel
	.section	.text._Z32dynamic_scaled_int8_quant_kernelI6__halffEvPKT_PaPT0_i,"axG",@progbits,_Z32dynamic_scaled_int8_quant_kernelI6__halffEvPKT_PaPT0_i,comdat
.Lfunc_end2:
	.size	_Z32dynamic_scaled_int8_quant_kernelI6__halffEvPKT_PaPT0_i, .Lfunc_end2-_Z32dynamic_scaled_int8_quant_kernelI6__halffEvPKT_PaPT0_i
                                        ; -- End function
	.set _Z32dynamic_scaled_int8_quant_kernelI6__halffEvPKT_PaPT0_i.num_vgpr, 17
	.set _Z32dynamic_scaled_int8_quant_kernelI6__halffEvPKT_PaPT0_i.num_agpr, 0
	.set _Z32dynamic_scaled_int8_quant_kernelI6__halffEvPKT_PaPT0_i.numbered_sgpr, 16
	.set _Z32dynamic_scaled_int8_quant_kernelI6__halffEvPKT_PaPT0_i.num_named_barrier, 0
	.set _Z32dynamic_scaled_int8_quant_kernelI6__halffEvPKT_PaPT0_i.private_seg_size, 0
	.set _Z32dynamic_scaled_int8_quant_kernelI6__halffEvPKT_PaPT0_i.uses_vcc, 1
	.set _Z32dynamic_scaled_int8_quant_kernelI6__halffEvPKT_PaPT0_i.uses_flat_scratch, 0
	.set _Z32dynamic_scaled_int8_quant_kernelI6__halffEvPKT_PaPT0_i.has_dyn_sized_stack, 0
	.set _Z32dynamic_scaled_int8_quant_kernelI6__halffEvPKT_PaPT0_i.has_recursion, 0
	.set _Z32dynamic_scaled_int8_quant_kernelI6__halffEvPKT_PaPT0_i.has_indirect_call, 0
	.section	.AMDGPU.csdata,"",@progbits
; Kernel info:
; codeLenInByte = 1444
; TotalNumSgprs: 18
; NumVgprs: 17
; ScratchSize: 0
; MemoryBound: 0
; FloatMode: 240
; IeeeMode: 1
; LDSByteSize: 132 bytes/workgroup (compile time only)
; SGPRBlocks: 0
; VGPRBlocks: 1
; NumSGPRsForWavesPerEU: 18
; NumVGPRsForWavesPerEU: 17
; NamedBarCnt: 0
; Occupancy: 16
; WaveLimiterHint : 0
; COMPUTE_PGM_RSRC2:SCRATCH_EN: 0
; COMPUTE_PGM_RSRC2:USER_SGPR: 2
; COMPUTE_PGM_RSRC2:TRAP_HANDLER: 0
; COMPUTE_PGM_RSRC2:TGID_X_EN: 1
; COMPUTE_PGM_RSRC2:TGID_Y_EN: 0
; COMPUTE_PGM_RSRC2:TGID_Z_EN: 0
; COMPUTE_PGM_RSRC2:TIDIG_COMP_CNT: 0
	.section	.text._Z36dynamic_scaled_int8_azp_quant_kernelI6__halffiEvPKT_PaPT0_PT1_i,"axG",@progbits,_Z36dynamic_scaled_int8_azp_quant_kernelI6__halffiEvPKT_PaPT0_PT1_i,comdat
	.protected	_Z36dynamic_scaled_int8_azp_quant_kernelI6__halffiEvPKT_PaPT0_PT1_i ; -- Begin function _Z36dynamic_scaled_int8_azp_quant_kernelI6__halffiEvPKT_PaPT0_PT1_i
	.globl	_Z36dynamic_scaled_int8_azp_quant_kernelI6__halffiEvPKT_PaPT0_PT1_i
	.p2align	8
	.type	_Z36dynamic_scaled_int8_azp_quant_kernelI6__halffiEvPKT_PaPT0_PT1_i,@function
_Z36dynamic_scaled_int8_azp_quant_kernelI6__halffiEvPKT_PaPT0_PT1_i: ; @_Z36dynamic_scaled_int8_azp_quant_kernelI6__halffiEvPKT_PaPT0_PT1_i
; %bb.0:
	s_clause 0x1
	s_load_b32 s12, s[0:1], 0x20
	s_load_b64 s[4:5], s[0:1], 0x0
	s_bfe_u32 s2, ttmp6, 0x4000c
	s_and_b32 s3, ttmp6, 15
	s_add_co_i32 s2, s2, 1
	s_getreg_b32 s6, hwreg(HW_REG_IB_STS2, 6, 4)
	s_mul_i32 s2, ttmp9, s2
	s_mov_b32 s19, 0
	s_add_co_i32 s3, s3, s2
	s_cmp_eq_u32 s6, 0
	s_add_nc_u64 s[6:7], s[0:1], 40
	s_cselect_b32 s18, ttmp9, s3
	s_mov_b32 s10, exec_lo
                                        ; implicit-def: $sgpr3
	s_wait_kmcnt 0x0
	s_ashr_i32 s13, s12, 31
	v_cmp_gt_i32_e64 s2, s12, v0
	s_mul_u64 s[16:17], s[12:13], s[18:19]
	s_delay_alu instid0(SALU_CYCLE_1)
	s_lshl_b64 s[8:9], s[16:17], 1
	v_cmpx_le_i32_e64 s12, v0
	s_xor_b32 s10, exec_lo, s10
	s_cbranch_execz .LBB3_2
; %bb.1:
	s_load_b32 s3, s[6:7], 0xc
	s_wait_kmcnt 0x0
	s_and_b32 s3, s3, 0xffff
.LBB3_2:
	s_or_saveexec_b32 s10, s10
	v_dual_mov_b32 v1, 0x7f7fffff :: v_dual_mov_b32 v4, s3
	v_mov_b32_e32 v13, 0x800000
	s_add_nc_u64 s[14:15], s[4:5], s[8:9]
	s_xor_b32 exec_lo, exec_lo, s10
	s_cbranch_execz .LBB3_6
; %bb.3:
	s_load_b32 s3, s[6:7], 0xc
	v_dual_mov_b32 v1, 0x7f7fffff :: v_dual_mov_b32 v2, v0
	v_mov_b32_e32 v13, 0x800000
	s_mov_b32 s5, 0
	s_wait_kmcnt 0x0
	s_and_b32 s4, s3, 0xffff
.LBB3_4:                                ; =>This Inner Loop Header: Depth=1
	global_load_u16 v3, v2, s[14:15] scale_offset
	s_wait_loadcnt 0x0
	v_cvt_f32_f16_e32 v3, v3
	s_delay_alu instid0(VALU_DEP_1) | instskip(NEXT) | instid1(VALU_DEP_1)
	v_cmp_lt_f32_e64 s3, v13, v3
	v_dual_add_nc_u32 v2, s4, v2 :: v_dual_cndmask_b32 v13, v13, v3, s3
	v_cmp_gt_f32_e64 s3, v1, v3
	s_delay_alu instid0(VALU_DEP_2) | instskip(NEXT) | instid1(VALU_DEP_2)
	v_cmp_le_i32_e32 vcc_lo, s12, v2
	v_cndmask_b32_e64 v1, v1, v3, s3
	s_or_b32 s5, vcc_lo, s5
	s_delay_alu instid0(SALU_CYCLE_1)
	s_and_not1_b32 exec_lo, exec_lo, s5
	s_cbranch_execnz .LBB3_4
; %bb.5:
	s_or_b32 exec_lo, exec_lo, s5
	v_mov_b32_e32 v4, s4
.LBB3_6:
	s_or_b32 exec_lo, exec_lo, s10
	v_mbcnt_lo_u32_b32 v14, -1, 0
	s_load_b64 s[20:21], s[0:1], 0x8
	s_delay_alu instid0(VALU_DEP_1) | instskip(SKIP_4) | instid1(VALU_DEP_4)
	v_cmp_ne_u32_e32 vcc_lo, 31, v14
	v_cmp_gt_u32_e64 s3, 28, v14
	v_cmp_gt_u32_e64 s4, 24, v14
	v_add_co_ci_u32_e64 v2, null, 0, v14, vcc_lo
	v_cmp_gt_u32_e32 vcc_lo, 30, v14
	v_cndmask_b32_e64 v9, 0, 4, s3
	s_delay_alu instid0(VALU_DEP_4) | instskip(NEXT) | instid1(VALU_DEP_4)
	v_cndmask_b32_e64 v11, 0, 8, s4
	v_lshlrev_b32_e32 v3, 2, v2
	v_and_b32_e32 v2, 0x3e0, v0
	v_cndmask_b32_e64 v6, 0, 2, vcc_lo
	ds_bpermute_b32 v5, v3, v13
	v_sub_nc_u32_e64 v15, v4, v2 clamp
	v_add_lshl_u32 v6, v6, v14, 2
	s_wait_dscnt 0x0
	v_cmp_lt_f32_e32 vcc_lo, v13, v5
	v_dual_cndmask_b32 v5, v13, v5 :: v_dual_add_nc_u32 v2, 1, v14
	s_delay_alu instid0(VALU_DEP_1) | instskip(NEXT) | instid1(VALU_DEP_2)
	v_cmp_lt_u32_e32 vcc_lo, v2, v15
	v_cndmask_b32_e32 v7, v13, v5, vcc_lo
	ds_bpermute_b32 v8, v6, v7
	s_wait_dscnt 0x0
	v_cmp_lt_f32_e64 s3, v7, v8
	s_delay_alu instid0(VALU_DEP_1) | instskip(NEXT) | instid1(VALU_DEP_1)
	v_dual_add_nc_u32 v5, 2, v14 :: v_dual_cndmask_b32 v10, v7, v8, s3
	v_cmp_lt_u32_e64 s3, v5, v15
	v_add_lshl_u32 v8, v9, v14, 2
	s_delay_alu instid0(VALU_DEP_2) | instskip(SKIP_3) | instid1(VALU_DEP_1)
	v_cndmask_b32_e64 v9, v7, v10, s3
	ds_bpermute_b32 v10, v8, v9
	s_wait_dscnt 0x0
	v_cmp_lt_f32_e64 s4, v9, v10
	v_cndmask_b32_e64 v12, v9, v10, s4
	v_add_nc_u32_e32 v7, 4, v14
	v_add_lshl_u32 v10, v11, v14, 2
	s_delay_alu instid0(VALU_DEP_2) | instskip(NEXT) | instid1(VALU_DEP_1)
	v_cmp_lt_u32_e64 s4, v7, v15
	v_cndmask_b32_e64 v12, v9, v12, s4
	ds_bpermute_b32 v11, v10, v12
	s_wait_dscnt 0x0
	v_cmp_lt_f32_e64 s5, v12, v11
	s_delay_alu instid0(VALU_DEP_1) | instskip(SKIP_1) | instid1(VALU_DEP_2)
	v_dual_cndmask_b32 v16, v12, v11, s5 :: v_dual_add_nc_u32 v9, 8, v14
	v_lshl_or_b32 v11, v14, 2, 64
	v_cmp_lt_u32_e64 s6, v9, v15
	s_delay_alu instid0(VALU_DEP_1)
	v_dual_cndmask_b32 v16, v12, v16, s6 :: v_dual_add_nc_u32 v12, 16, v14
	ds_bpermute_b32 v17, v11, v16
	v_cmp_lt_u32_e64 s8, v12, v15
	s_wait_dscnt 0x0
	v_cmp_lt_f32_e64 s5, v16, v17
	s_and_b32 s5, s8, s5
	s_delay_alu instid0(SALU_CYCLE_1) | instskip(SKIP_1) | instid1(VALU_DEP_2)
	v_cndmask_b32_e64 v15, v16, v17, s5
	v_cmp_eq_u32_e64 s5, 0, v14
	v_dual_cndmask_b32 v13, v13, v15, vcc_lo :: v_dual_lshrrev_b32 v15, 3, v0
	s_and_saveexec_b32 s7, s5
; %bb.7:
	s_delay_alu instid0(VALU_DEP_1)
	v_and_b32_e32 v16, 0x7c, v15
	ds_store_b32 v16, v13
; %bb.8:
	s_or_b32 exec_lo, exec_lo, s7
	v_cmp_gt_u32_e64 s7, 32, v0
	v_dual_lshlrev_b32 v16, 2, v14 :: v_dual_add_nc_u32 v14, 31, v4
	s_wait_dscnt 0x0
	s_barrier_signal -1
	s_barrier_wait -1
	s_and_saveexec_b32 s13, s7
	s_cbranch_execz .LBB3_10
; %bb.9:
	ds_load_b32 v13, v16
	s_wait_dscnt 0x0
	ds_bpermute_b32 v17, v3, v13
	s_wait_dscnt 0x0
	v_cmp_lt_f32_e64 s9, v13, v17
	s_delay_alu instid0(VALU_DEP_1) | instskip(NEXT) | instid1(VALU_DEP_1)
	v_dual_lshrrev_b32 v18, 5, v14 :: v_dual_cndmask_b32 v17, v13, v17, s9
	v_cmp_lt_u32_e64 s9, v2, v18
	s_delay_alu instid0(VALU_DEP_1) | instskip(SKIP_3) | instid1(VALU_DEP_1)
	v_cndmask_b32_e64 v17, v13, v17, s9
	ds_bpermute_b32 v19, v6, v17
	s_wait_dscnt 0x0
	v_cmp_lt_f32_e64 s10, v17, v19
	v_cndmask_b32_e64 v19, v17, v19, s10
	v_cmp_lt_u32_e64 s10, v5, v18
	s_delay_alu instid0(VALU_DEP_1) | instskip(SKIP_3) | instid1(VALU_DEP_1)
	v_cndmask_b32_e64 v17, v17, v19, s10
	ds_bpermute_b32 v19, v8, v17
	s_wait_dscnt 0x0
	v_cmp_lt_f32_e64 s10, v17, v19
	v_cndmask_b32_e64 v19, v17, v19, s10
	;; [unrolled: 7-line block ×3, first 2 shown]
	v_cmp_lt_u32_e64 s10, v9, v18
	s_delay_alu instid0(VALU_DEP_1)
	v_cndmask_b32_e64 v17, v17, v19, s10
	v_cmp_lt_u32_e64 s10, v12, v18
	ds_bpermute_b32 v19, v11, v17
	s_wait_dscnt 0x0
	v_cmp_lt_f32_e64 s11, v17, v19
	s_and_b32 s10, s10, s11
	s_delay_alu instid0(SALU_CYCLE_1) | instskip(NEXT) | instid1(VALU_DEP_1)
	v_cndmask_b32_e64 v17, v17, v19, s10
	v_cndmask_b32_e64 v13, v13, v17, s9
.LBB3_10:
	s_or_b32 exec_lo, exec_lo, s13
	ds_bpermute_b32 v17, v3, v1
	s_wait_dscnt 0x0
	s_barrier_signal -1
	s_barrier_wait -1
	v_cmp_gt_f32_e64 s9, v1, v17
	s_delay_alu instid0(VALU_DEP_1) | instskip(NEXT) | instid1(VALU_DEP_1)
	v_cndmask_b32_e64 v17, v1, v17, s9
	v_cndmask_b32_e32 v17, v1, v17, vcc_lo
	ds_bpermute_b32 v18, v6, v17
	s_wait_dscnt 0x0
	v_cmp_gt_f32_e64 s9, v17, v18
	s_delay_alu instid0(VALU_DEP_1) | instskip(NEXT) | instid1(VALU_DEP_1)
	v_cndmask_b32_e64 v18, v17, v18, s9
	v_cndmask_b32_e64 v17, v17, v18, s3
	ds_bpermute_b32 v18, v8, v17
	s_wait_dscnt 0x0
	v_cmp_gt_f32_e64 s3, v17, v18
	s_delay_alu instid0(VALU_DEP_1) | instskip(NEXT) | instid1(VALU_DEP_1)
	v_cndmask_b32_e64 v18, v17, v18, s3
	v_cndmask_b32_e64 v17, v17, v18, s4
	;; [unrolled: 6-line block ×3, first 2 shown]
	ds_bpermute_b32 v18, v11, v17
	s_wait_dscnt 0x0
	v_cmp_gt_f32_e64 s3, v17, v18
	s_and_b32 s3, s8, s3
	s_delay_alu instid0(SALU_CYCLE_1) | instskip(NEXT) | instid1(VALU_DEP_1)
	v_cndmask_b32_e64 v17, v17, v18, s3
	v_cndmask_b32_e32 v1, v1, v17, vcc_lo
	s_and_saveexec_b32 s3, s5
; %bb.11:
	v_and_b32_e32 v15, 0x7c, v15
	ds_store_b32 v15, v1
; %bb.12:
	s_or_b32 exec_lo, exec_lo, s3
	s_wait_dscnt 0x0
	s_barrier_signal -1
	s_barrier_wait -1
	s_and_saveexec_b32 s5, s7
	s_cbranch_execz .LBB3_14
; %bb.13:
	ds_load_b32 v1, v16
	s_wait_dscnt 0x0
	ds_bpermute_b32 v3, v3, v1
	s_wait_dscnt 0x0
	v_cmp_gt_f32_e32 vcc_lo, v1, v3
	v_dual_cndmask_b32 v3, v1, v3 :: v_dual_lshrrev_b32 v14, 5, v14
	s_delay_alu instid0(VALU_DEP_1) | instskip(NEXT) | instid1(VALU_DEP_2)
	v_cmp_lt_u32_e32 vcc_lo, v2, v14
	v_cndmask_b32_e32 v2, v1, v3, vcc_lo
	ds_bpermute_b32 v3, v6, v2
	s_wait_dscnt 0x0
	v_cmp_gt_f32_e64 s3, v2, v3
	s_delay_alu instid0(VALU_DEP_1) | instskip(SKIP_1) | instid1(VALU_DEP_1)
	v_cndmask_b32_e64 v3, v2, v3, s3
	v_cmp_lt_u32_e64 s3, v5, v14
	v_cndmask_b32_e64 v2, v2, v3, s3
	ds_bpermute_b32 v3, v8, v2
	s_wait_dscnt 0x0
	v_cmp_gt_f32_e64 s3, v2, v3
	s_delay_alu instid0(VALU_DEP_1) | instskip(SKIP_1) | instid1(VALU_DEP_1)
	v_cndmask_b32_e64 v3, v2, v3, s3
	v_cmp_lt_u32_e64 s3, v7, v14
	v_cndmask_b32_e64 v2, v2, v3, s3
	;; [unrolled: 7-line block ×3, first 2 shown]
	v_cmp_lt_u32_e64 s3, v12, v14
	ds_bpermute_b32 v3, v11, v2
	s_wait_dscnt 0x0
	v_cmp_gt_f32_e64 s4, v2, v3
	s_and_b32 s3, s3, s4
	s_delay_alu instid0(SALU_CYCLE_1) | instskip(NEXT) | instid1(VALU_DEP_1)
	v_cndmask_b32_e64 v2, v2, v3, s3
	v_cndmask_b32_e32 v1, v1, v2, vcc_lo
.LBB3_14:
	s_or_b32 exec_lo, exec_lo, s5
	s_delay_alu instid0(SALU_CYCLE_1)
	s_mov_b32 s3, exec_lo
	v_cmpx_eq_u32_e32 0, v0
	s_cbranch_execz .LBB3_16
; %bb.15:
	v_sub_f32_e32 v2, v13, v1
	s_load_b128 s[4:7], s[0:1], 0x10
	s_wait_xcnt 0x0
	s_lshl_b64 s[0:1], s[18:19], 2
	s_delay_alu instid0(VALU_DEP_1) | instskip(SKIP_1) | instid1(VALU_DEP_2)
	v_div_scale_f32 v3, null, 0x437f0000, 0x437f0000, v2
	v_div_scale_f32 v7, vcc_lo, v2, 0x437f0000, v2
	v_rcp_f32_e32 v5, v3
	v_nop
	s_delay_alu instid0(TRANS32_DEP_1) | instskip(SKIP_2) | instid1(VALU_DEP_1)
	v_fma_f32 v6, -v3, v5, 1.0
	s_wait_kmcnt 0x0
	s_add_nc_u64 s[4:5], s[4:5], s[0:1]
	v_fmac_f32_e32 v5, v6, v5
	s_add_nc_u64 s[0:1], s[6:7], s[0:1]
	s_delay_alu instid0(VALU_DEP_1) | instskip(NEXT) | instid1(VALU_DEP_1)
	v_mul_f32_e32 v6, v7, v5
	v_fma_f32 v8, -v3, v6, v7
	s_delay_alu instid0(VALU_DEP_1) | instskip(NEXT) | instid1(VALU_DEP_1)
	v_fmac_f32_e32 v6, v8, v5
	v_fma_f32 v3, -v3, v6, v7
	s_delay_alu instid0(VALU_DEP_1) | instskip(NEXT) | instid1(VALU_DEP_1)
	v_div_fmas_f32 v3, v3, v5, v6
	v_div_fixup_f32 v3, v3, 0x437f0000, v2
	s_delay_alu instid0(VALU_DEP_1) | instskip(SKIP_1) | instid1(VALU_DEP_2)
	v_div_scale_f32 v2, null, v3, v3, v1
	v_div_scale_f32 v7, vcc_lo, v1, v3, v1
	v_rcp_f32_e32 v5, v2
	v_nop
	s_delay_alu instid0(TRANS32_DEP_1) | instskip(NEXT) | instid1(VALU_DEP_1)
	v_fma_f32 v6, -v2, v5, 1.0
	v_fmac_f32_e32 v5, v6, v5
	s_delay_alu instid0(VALU_DEP_1) | instskip(NEXT) | instid1(VALU_DEP_1)
	v_mul_f32_e32 v6, v7, v5
	v_fma_f32 v8, -v2, v6, v7
	s_delay_alu instid0(VALU_DEP_1) | instskip(NEXT) | instid1(VALU_DEP_1)
	v_fmac_f32_e32 v6, v8, v5
	v_fma_f32 v2, -v2, v6, v7
	s_delay_alu instid0(VALU_DEP_1) | instskip(SKIP_1) | instid1(VALU_DEP_2)
	v_div_fmas_f32 v2, v2, v5, v6
	v_mov_b32_e32 v5, 0
	v_div_fixup_f32 v1, v2, v3, v1
	s_delay_alu instid0(VALU_DEP_1) | instskip(NEXT) | instid1(VALU_DEP_1)
	v_sub_f32_e32 v1, 0xc3000000, v1
	v_rndne_f32_e32 v1, v1
	s_delay_alu instid0(VALU_DEP_1)
	v_cvt_i32_f32_e32 v2, v1
	ds_store_b64 v5, v[2:3] offset:128
	s_clause 0x1
	global_store_b32 v5, v3, s[4:5]
	global_store_b32 v5, v2, s[0:1]
.LBB3_16:
	s_wait_xcnt 0x0
	s_or_b32 exec_lo, exec_lo, s3
	s_wait_storecnt_dscnt 0x0
	s_barrier_signal -1
	s_barrier_wait -1
	s_and_saveexec_b32 s0, s2
	s_cbranch_execz .LBB3_23
; %bb.17:
	v_mov_b32_e32 v1, 0
	s_wait_kmcnt 0x0
	s_add_nc_u64 s[0:1], s[20:21], s[16:17]
	s_mov_b32 s2, 0
	s_movk_i32 s3, 0xff80
	ds_load_b64 v[2:3], v1 offset:128
	s_branch .LBB3_20
.LBB3_18:                               ;   in Loop: Header=BB3_20 Depth=1
	s_or_b32 exec_lo, exec_lo, s5
.LBB3_19:                               ;   in Loop: Header=BB3_20 Depth=1
	s_delay_alu instid0(SALU_CYCLE_1) | instskip(SKIP_1) | instid1(VALU_DEP_1)
	s_or_b32 exec_lo, exec_lo, s4
	v_ashrrev_i32_e32 v1, 31, v0
	v_add_nc_u64_e32 v[6:7], s[0:1], v[0:1]
	v_dual_add_nc_u32 v0, v0, v4 :: v_dual_add_nc_u32 v1, v5, v2
	s_delay_alu instid0(VALU_DEP_1) | instskip(NEXT) | instid1(VALU_DEP_2)
	v_cmp_le_i32_e32 vcc_lo, s12, v0
	v_med3_i32 v1, v1, s3, 0x7f
	s_or_b32 s2, vcc_lo, s2
	global_store_b8 v[6:7], v1, off
	s_wait_xcnt 0x0
	s_and_not1_b32 exec_lo, exec_lo, s2
	s_cbranch_execz .LBB3_23
.LBB3_20:                               ; =>This Inner Loop Header: Depth=1
	global_load_u16 v1, v0, s[14:15] scale_offset
	s_mov_b32 s4, exec_lo
	s_wait_loadcnt 0x0
	v_cvt_f32_f16_e32 v1, v1
	s_wait_dscnt 0x0
	s_delay_alu instid0(VALU_DEP_1) | instskip(SKIP_1) | instid1(VALU_DEP_2)
	v_div_scale_f32 v5, null, v3, v3, v1
	v_div_scale_f32 v8, vcc_lo, v1, v3, v1
	v_rcp_f32_e32 v6, v5
	v_nop
	s_delay_alu instid0(TRANS32_DEP_1) | instskip(NEXT) | instid1(VALU_DEP_1)
	v_fma_f32 v7, -v5, v6, 1.0
	v_fmac_f32_e32 v6, v7, v6
	s_delay_alu instid0(VALU_DEP_1) | instskip(NEXT) | instid1(VALU_DEP_1)
	v_mul_f32_e32 v7, v8, v6
	v_fma_f32 v9, -v5, v7, v8
	s_delay_alu instid0(VALU_DEP_1) | instskip(NEXT) | instid1(VALU_DEP_1)
	v_fmac_f32_e32 v7, v9, v6
	v_fma_f32 v5, -v5, v7, v8
	s_delay_alu instid0(VALU_DEP_1) | instskip(NEXT) | instid1(VALU_DEP_1)
	v_div_fmas_f32 v5, v5, v6, v7
	v_div_fixup_f32 v1, v5, v3, v1
	v_bfrev_b32_e32 v5, -2
	s_delay_alu instid0(VALU_DEP_2) | instskip(SKIP_1) | instid1(VALU_DEP_1)
	v_rndne_f32_e32 v1, v1
	s_wait_xcnt 0x0
	v_cmpx_nle_f32_e32 0x4f000000, v1
	s_cbranch_execz .LBB3_19
; %bb.21:                               ;   in Loop: Header=BB3_20 Depth=1
	v_bfrev_b32_e32 v5, 1
	s_mov_b32 s5, exec_lo
	v_cmpx_nge_f32_e32 0xcf000000, v1
	s_cbranch_execz .LBB3_18
; %bb.22:                               ;   in Loop: Header=BB3_20 Depth=1
	v_cvt_i32_f32_e32 v5, v1
	s_branch .LBB3_18
.LBB3_23:
	s_endpgm
	.section	.rodata,"a",@progbits
	.p2align	6, 0x0
	.amdhsa_kernel _Z36dynamic_scaled_int8_azp_quant_kernelI6__halffiEvPKT_PaPT0_PT1_i
		.amdhsa_group_segment_fixed_size 136
		.amdhsa_private_segment_fixed_size 0
		.amdhsa_kernarg_size 296
		.amdhsa_user_sgpr_count 2
		.amdhsa_user_sgpr_dispatch_ptr 0
		.amdhsa_user_sgpr_queue_ptr 0
		.amdhsa_user_sgpr_kernarg_segment_ptr 1
		.amdhsa_user_sgpr_dispatch_id 0
		.amdhsa_user_sgpr_kernarg_preload_length 0
		.amdhsa_user_sgpr_kernarg_preload_offset 0
		.amdhsa_user_sgpr_private_segment_size 0
		.amdhsa_wavefront_size32 1
		.amdhsa_uses_dynamic_stack 0
		.amdhsa_enable_private_segment 0
		.amdhsa_system_sgpr_workgroup_id_x 1
		.amdhsa_system_sgpr_workgroup_id_y 0
		.amdhsa_system_sgpr_workgroup_id_z 0
		.amdhsa_system_sgpr_workgroup_info 0
		.amdhsa_system_vgpr_workitem_id 0
		.amdhsa_next_free_vgpr 20
		.amdhsa_next_free_sgpr 22
		.amdhsa_named_barrier_count 0
		.amdhsa_reserve_vcc 1
		.amdhsa_float_round_mode_32 0
		.amdhsa_float_round_mode_16_64 0
		.amdhsa_float_denorm_mode_32 3
		.amdhsa_float_denorm_mode_16_64 3
		.amdhsa_fp16_overflow 0
		.amdhsa_memory_ordered 1
		.amdhsa_forward_progress 1
		.amdhsa_inst_pref_size 17
		.amdhsa_round_robin_scheduling 0
		.amdhsa_exception_fp_ieee_invalid_op 0
		.amdhsa_exception_fp_denorm_src 0
		.amdhsa_exception_fp_ieee_div_zero 0
		.amdhsa_exception_fp_ieee_overflow 0
		.amdhsa_exception_fp_ieee_underflow 0
		.amdhsa_exception_fp_ieee_inexact 0
		.amdhsa_exception_int_div_zero 0
	.end_amdhsa_kernel
	.section	.text._Z36dynamic_scaled_int8_azp_quant_kernelI6__halffiEvPKT_PaPT0_PT1_i,"axG",@progbits,_Z36dynamic_scaled_int8_azp_quant_kernelI6__halffiEvPKT_PaPT0_PT1_i,comdat
.Lfunc_end3:
	.size	_Z36dynamic_scaled_int8_azp_quant_kernelI6__halffiEvPKT_PaPT0_PT1_i, .Lfunc_end3-_Z36dynamic_scaled_int8_azp_quant_kernelI6__halffiEvPKT_PaPT0_PT1_i
                                        ; -- End function
	.set _Z36dynamic_scaled_int8_azp_quant_kernelI6__halffiEvPKT_PaPT0_PT1_i.num_vgpr, 20
	.set _Z36dynamic_scaled_int8_azp_quant_kernelI6__halffiEvPKT_PaPT0_PT1_i.num_agpr, 0
	.set _Z36dynamic_scaled_int8_azp_quant_kernelI6__halffiEvPKT_PaPT0_PT1_i.numbered_sgpr, 22
	.set _Z36dynamic_scaled_int8_azp_quant_kernelI6__halffiEvPKT_PaPT0_PT1_i.num_named_barrier, 0
	.set _Z36dynamic_scaled_int8_azp_quant_kernelI6__halffiEvPKT_PaPT0_PT1_i.private_seg_size, 0
	.set _Z36dynamic_scaled_int8_azp_quant_kernelI6__halffiEvPKT_PaPT0_PT1_i.uses_vcc, 1
	.set _Z36dynamic_scaled_int8_azp_quant_kernelI6__halffiEvPKT_PaPT0_PT1_i.uses_flat_scratch, 0
	.set _Z36dynamic_scaled_int8_azp_quant_kernelI6__halffiEvPKT_PaPT0_PT1_i.has_dyn_sized_stack, 0
	.set _Z36dynamic_scaled_int8_azp_quant_kernelI6__halffiEvPKT_PaPT0_PT1_i.has_recursion, 0
	.set _Z36dynamic_scaled_int8_azp_quant_kernelI6__halffiEvPKT_PaPT0_PT1_i.has_indirect_call, 0
	.section	.AMDGPU.csdata,"",@progbits
; Kernel info:
; codeLenInByte = 2176
; TotalNumSgprs: 24
; NumVgprs: 20
; ScratchSize: 0
; MemoryBound: 0
; FloatMode: 240
; IeeeMode: 1
; LDSByteSize: 136 bytes/workgroup (compile time only)
; SGPRBlocks: 0
; VGPRBlocks: 1
; NumSGPRsForWavesPerEU: 24
; NumVGPRsForWavesPerEU: 20
; NamedBarCnt: 0
; Occupancy: 16
; WaveLimiterHint : 0
; COMPUTE_PGM_RSRC2:SCRATCH_EN: 0
; COMPUTE_PGM_RSRC2:USER_SGPR: 2
; COMPUTE_PGM_RSRC2:TRAP_HANDLER: 0
; COMPUTE_PGM_RSRC2:TGID_X_EN: 1
; COMPUTE_PGM_RSRC2:TGID_Y_EN: 0
; COMPUTE_PGM_RSRC2:TGID_Z_EN: 0
; COMPUTE_PGM_RSRC2:TIDIG_COMP_CNT: 0
	.section	.text._Z31static_scaled_int8_quant_kernelI12hip_bfloat16fEvPKT_PaT0_i,"axG",@progbits,_Z31static_scaled_int8_quant_kernelI12hip_bfloat16fEvPKT_PaT0_i,comdat
	.protected	_Z31static_scaled_int8_quant_kernelI12hip_bfloat16fEvPKT_PaT0_i ; -- Begin function _Z31static_scaled_int8_quant_kernelI12hip_bfloat16fEvPKT_PaT0_i
	.globl	_Z31static_scaled_int8_quant_kernelI12hip_bfloat16fEvPKT_PaT0_i
	.p2align	8
	.type	_Z31static_scaled_int8_quant_kernelI12hip_bfloat16fEvPKT_PaT0_i,@function
_Z31static_scaled_int8_quant_kernelI12hip_bfloat16fEvPKT_PaT0_i: ; @_Z31static_scaled_int8_quant_kernelI12hip_bfloat16fEvPKT_PaT0_i
; %bb.0:
	s_load_b64 s[2:3], s[0:1], 0x10
	s_mov_b32 s4, exec_lo
	s_wait_kmcnt 0x0
	v_cmpx_gt_i32_e64 s3, v0
	s_cbranch_execz .LBB4_3
; %bb.1:
	s_clause 0x1
	s_load_b128 s[8:11], s[0:1], 0x0
	s_load_b32 s12, s[0:1], 0x24
	s_wait_xcnt 0x0
	s_bfe_u32 s0, ttmp6, 0x4000c
	s_and_b32 s4, ttmp6, 15
	s_add_co_i32 s0, s0, 1
	s_getreg_b32 s5, hwreg(HW_REG_IB_STS2, 6, 4)
	s_mul_i32 s0, ttmp9, s0
	s_mov_b32 s1, 0
	s_add_co_i32 s0, s4, s0
	s_cmp_eq_u32 s5, 0
	s_mov_b32 s4, s3
	s_cselect_b32 s0, ttmp9, s0
	s_ashr_i32 s5, s3, 31
	s_delay_alu instid0(SALU_CYCLE_1) | instskip(NEXT) | instid1(SALU_CYCLE_1)
	s_mul_u64 s[4:5], s[4:5], s[0:1]
	s_lshl_b64 s[6:7], s[4:5], 1
	s_wait_kmcnt 0x0
	s_add_nc_u64 s[4:5], s[10:11], s[4:5]
	s_add_nc_u64 s[6:7], s[8:9], s[6:7]
	s_and_b32 s0, s12, 0xffff
.LBB4_2:                                ; =>This Inner Loop Header: Depth=1
	global_load_u16 v1, v0, s[6:7] scale_offset
	s_wait_loadcnt 0x0
	v_lshlrev_b32_e32 v1, 16, v1
	s_delay_alu instid0(VALU_DEP_1) | instskip(NEXT) | instid1(VALU_DEP_1)
	v_div_scale_f32 v2, null, s2, s2, v1
	v_rcp_f32_e32 v3, v2
	v_nop
	s_delay_alu instid0(TRANS32_DEP_1) | instskip(NEXT) | instid1(VALU_DEP_1)
	v_fma_f32 v4, -v2, v3, 1.0
	v_fmac_f32_e32 v3, v4, v3
	v_div_scale_f32 v5, vcc_lo, v1, s2, v1
	s_delay_alu instid0(VALU_DEP_1) | instskip(NEXT) | instid1(VALU_DEP_1)
	v_mul_f32_e32 v4, v5, v3
	v_fma_f32 v6, -v2, v4, v5
	s_delay_alu instid0(VALU_DEP_1) | instskip(NEXT) | instid1(VALU_DEP_1)
	v_fmac_f32_e32 v4, v6, v3
	v_fma_f32 v2, -v2, v4, v5
	s_delay_alu instid0(VALU_DEP_1) | instskip(NEXT) | instid1(VALU_DEP_1)
	v_div_fmas_f32 v2, v2, v3, v4
	v_div_fixup_f32 v1, v2, s2, v1
	s_delay_alu instid0(VALU_DEP_1) | instskip(NEXT) | instid1(VALU_DEP_1)
	v_rndne_f32_e32 v1, v1
	v_cmp_nlt_f32_e32 vcc_lo, 0x42fe0000, v1
	v_cndmask_b32_e32 v2, 0x42fe0000, v1, vcc_lo
	v_cmp_ngt_f32_e32 vcc_lo, 0xc3000000, v1
	s_delay_alu instid0(VALU_DEP_2) | instskip(NEXT) | instid1(VALU_DEP_1)
	v_cndmask_b32_e32 v1, 0xc3000000, v2, vcc_lo
	v_cvt_i32_f32_e32 v1, v1
	global_store_b8 v0, v1, s[4:5]
	s_wait_xcnt 0x0
	v_add_nc_u32_e32 v0, s0, v0
	s_delay_alu instid0(VALU_DEP_1) | instskip(SKIP_1) | instid1(SALU_CYCLE_1)
	v_cmp_le_i32_e32 vcc_lo, s3, v0
	s_or_b32 s1, vcc_lo, s1
	s_and_not1_b32 exec_lo, exec_lo, s1
	s_cbranch_execnz .LBB4_2
.LBB4_3:
	s_endpgm
	.section	.rodata,"a",@progbits
	.p2align	6, 0x0
	.amdhsa_kernel _Z31static_scaled_int8_quant_kernelI12hip_bfloat16fEvPKT_PaT0_i
		.amdhsa_group_segment_fixed_size 0
		.amdhsa_private_segment_fixed_size 0
		.amdhsa_kernarg_size 280
		.amdhsa_user_sgpr_count 2
		.amdhsa_user_sgpr_dispatch_ptr 0
		.amdhsa_user_sgpr_queue_ptr 0
		.amdhsa_user_sgpr_kernarg_segment_ptr 1
		.amdhsa_user_sgpr_dispatch_id 0
		.amdhsa_user_sgpr_kernarg_preload_length 0
		.amdhsa_user_sgpr_kernarg_preload_offset 0
		.amdhsa_user_sgpr_private_segment_size 0
		.amdhsa_wavefront_size32 1
		.amdhsa_uses_dynamic_stack 0
		.amdhsa_enable_private_segment 0
		.amdhsa_system_sgpr_workgroup_id_x 1
		.amdhsa_system_sgpr_workgroup_id_y 0
		.amdhsa_system_sgpr_workgroup_id_z 0
		.amdhsa_system_sgpr_workgroup_info 0
		.amdhsa_system_vgpr_workitem_id 0
		.amdhsa_next_free_vgpr 7
		.amdhsa_next_free_sgpr 13
		.amdhsa_named_barrier_count 0
		.amdhsa_reserve_vcc 1
		.amdhsa_float_round_mode_32 0
		.amdhsa_float_round_mode_16_64 0
		.amdhsa_float_denorm_mode_32 3
		.amdhsa_float_denorm_mode_16_64 3
		.amdhsa_fp16_overflow 0
		.amdhsa_memory_ordered 1
		.amdhsa_forward_progress 1
		.amdhsa_inst_pref_size 3
		.amdhsa_round_robin_scheduling 0
		.amdhsa_exception_fp_ieee_invalid_op 0
		.amdhsa_exception_fp_denorm_src 0
		.amdhsa_exception_fp_ieee_div_zero 0
		.amdhsa_exception_fp_ieee_overflow 0
		.amdhsa_exception_fp_ieee_underflow 0
		.amdhsa_exception_fp_ieee_inexact 0
		.amdhsa_exception_int_div_zero 0
	.end_amdhsa_kernel
	.section	.text._Z31static_scaled_int8_quant_kernelI12hip_bfloat16fEvPKT_PaT0_i,"axG",@progbits,_Z31static_scaled_int8_quant_kernelI12hip_bfloat16fEvPKT_PaT0_i,comdat
.Lfunc_end4:
	.size	_Z31static_scaled_int8_quant_kernelI12hip_bfloat16fEvPKT_PaT0_i, .Lfunc_end4-_Z31static_scaled_int8_quant_kernelI12hip_bfloat16fEvPKT_PaT0_i
                                        ; -- End function
	.set _Z31static_scaled_int8_quant_kernelI12hip_bfloat16fEvPKT_PaT0_i.num_vgpr, 7
	.set _Z31static_scaled_int8_quant_kernelI12hip_bfloat16fEvPKT_PaT0_i.num_agpr, 0
	.set _Z31static_scaled_int8_quant_kernelI12hip_bfloat16fEvPKT_PaT0_i.numbered_sgpr, 13
	.set _Z31static_scaled_int8_quant_kernelI12hip_bfloat16fEvPKT_PaT0_i.num_named_barrier, 0
	.set _Z31static_scaled_int8_quant_kernelI12hip_bfloat16fEvPKT_PaT0_i.private_seg_size, 0
	.set _Z31static_scaled_int8_quant_kernelI12hip_bfloat16fEvPKT_PaT0_i.uses_vcc, 1
	.set _Z31static_scaled_int8_quant_kernelI12hip_bfloat16fEvPKT_PaT0_i.uses_flat_scratch, 0
	.set _Z31static_scaled_int8_quant_kernelI12hip_bfloat16fEvPKT_PaT0_i.has_dyn_sized_stack, 0
	.set _Z31static_scaled_int8_quant_kernelI12hip_bfloat16fEvPKT_PaT0_i.has_recursion, 0
	.set _Z31static_scaled_int8_quant_kernelI12hip_bfloat16fEvPKT_PaT0_i.has_indirect_call, 0
	.section	.AMDGPU.csdata,"",@progbits
; Kernel info:
; codeLenInByte = 340
; TotalNumSgprs: 15
; NumVgprs: 7
; ScratchSize: 0
; MemoryBound: 0
; FloatMode: 240
; IeeeMode: 1
; LDSByteSize: 0 bytes/workgroup (compile time only)
; SGPRBlocks: 0
; VGPRBlocks: 0
; NumSGPRsForWavesPerEU: 15
; NumVGPRsForWavesPerEU: 7
; NamedBarCnt: 0
; Occupancy: 16
; WaveLimiterHint : 0
; COMPUTE_PGM_RSRC2:SCRATCH_EN: 0
; COMPUTE_PGM_RSRC2:USER_SGPR: 2
; COMPUTE_PGM_RSRC2:TRAP_HANDLER: 0
; COMPUTE_PGM_RSRC2:TGID_X_EN: 1
; COMPUTE_PGM_RSRC2:TGID_Y_EN: 0
; COMPUTE_PGM_RSRC2:TGID_Z_EN: 0
; COMPUTE_PGM_RSRC2:TIDIG_COMP_CNT: 0
	.section	.text._Z35static_scaled_int8_azp_quant_kernelI12hip_bfloat16fiEvPKT_PaT0_T1_i,"axG",@progbits,_Z35static_scaled_int8_azp_quant_kernelI12hip_bfloat16fiEvPKT_PaT0_T1_i,comdat
	.protected	_Z35static_scaled_int8_azp_quant_kernelI12hip_bfloat16fiEvPKT_PaT0_T1_i ; -- Begin function _Z35static_scaled_int8_azp_quant_kernelI12hip_bfloat16fiEvPKT_PaT0_T1_i
	.globl	_Z35static_scaled_int8_azp_quant_kernelI12hip_bfloat16fiEvPKT_PaT0_T1_i
	.p2align	8
	.type	_Z35static_scaled_int8_azp_quant_kernelI12hip_bfloat16fiEvPKT_PaT0_T1_i,@function
_Z35static_scaled_int8_azp_quant_kernelI12hip_bfloat16fiEvPKT_PaT0_T1_i: ; @_Z35static_scaled_int8_azp_quant_kernelI12hip_bfloat16fiEvPKT_PaT0_T1_i
; %bb.0:
	s_load_b96 s[4:6], s[0:1], 0x10
	s_mov_b32 s2, exec_lo
	s_wait_kmcnt 0x0
	v_cmpx_gt_i32_e64 s6, v0
	s_cbranch_execz .LBB5_7
; %bb.1:
	s_clause 0x1
	s_load_b128 s[8:11], s[0:1], 0x0
	s_load_b32 s7, s[0:1], 0x2c
	s_wait_xcnt 0x0
	s_bfe_u32 s0, ttmp6, 0x4000c
	s_and_b32 s2, ttmp6, 15
	s_add_co_i32 s0, s0, 1
	s_getreg_b32 s3, hwreg(HW_REG_IB_STS2, 6, 4)
	s_mul_i32 s0, ttmp9, s0
	s_mov_b32 s1, 0
	s_add_co_i32 s0, s2, s0
	s_cmp_eq_u32 s3, 0
	s_mov_b32 s2, s6
	s_cselect_b32 s0, ttmp9, s0
	s_ashr_i32 s3, s6, 31
	s_delay_alu instid0(SALU_CYCLE_1) | instskip(NEXT) | instid1(SALU_CYCLE_1)
	s_mul_u64 s[2:3], s[2:3], s[0:1]
	s_lshl_b64 s[12:13], s[2:3], 1
	s_wait_kmcnt 0x0
	s_add_nc_u64 s[2:3], s[10:11], s[2:3]
	s_add_nc_u64 s[8:9], s[8:9], s[12:13]
	s_and_b32 s0, s7, 0xffff
	s_movk_i32 s7, 0xff80
	s_branch .LBB5_4
.LBB5_2:                                ;   in Loop: Header=BB5_4 Depth=1
	s_or_b32 exec_lo, exec_lo, s11
.LBB5_3:                                ;   in Loop: Header=BB5_4 Depth=1
	s_delay_alu instid0(SALU_CYCLE_1) | instskip(SKIP_1) | instid1(VALU_DEP_1)
	s_or_b32 exec_lo, exec_lo, s10
	v_ashrrev_i32_e32 v1, 31, v0
	v_add_nc_u64_e32 v[4:5], s[2:3], v[0:1]
	v_dual_add_nc_u32 v0, s0, v0 :: v_dual_add_nc_u32 v1, s5, v2
	s_delay_alu instid0(VALU_DEP_1) | instskip(NEXT) | instid1(VALU_DEP_2)
	v_cmp_le_i32_e32 vcc_lo, s6, v0
	v_med3_i32 v1, v1, s7, 0x7f
	s_or_b32 s1, vcc_lo, s1
	global_store_b8 v[4:5], v1, off
	s_wait_xcnt 0x0
	s_and_not1_b32 exec_lo, exec_lo, s1
	s_cbranch_execz .LBB5_7
.LBB5_4:                                ; =>This Inner Loop Header: Depth=1
	global_load_u16 v1, v0, s[8:9] scale_offset
	s_mov_b32 s10, exec_lo
	s_wait_loadcnt 0x0
	v_lshlrev_b32_e32 v1, 16, v1
	s_delay_alu instid0(VALU_DEP_1) | instskip(NEXT) | instid1(VALU_DEP_1)
	v_div_scale_f32 v2, null, s4, s4, v1
	v_rcp_f32_e32 v3, v2
	v_nop
	s_delay_alu instid0(TRANS32_DEP_1) | instskip(NEXT) | instid1(VALU_DEP_1)
	v_fma_f32 v4, -v2, v3, 1.0
	v_fmac_f32_e32 v3, v4, v3
	v_div_scale_f32 v5, vcc_lo, v1, s4, v1
	s_delay_alu instid0(VALU_DEP_1) | instskip(NEXT) | instid1(VALU_DEP_1)
	v_mul_f32_e32 v4, v5, v3
	v_fma_f32 v6, -v2, v4, v5
	s_delay_alu instid0(VALU_DEP_1) | instskip(NEXT) | instid1(VALU_DEP_1)
	v_fmac_f32_e32 v4, v6, v3
	v_fma_f32 v2, -v2, v4, v5
	s_delay_alu instid0(VALU_DEP_1) | instskip(NEXT) | instid1(VALU_DEP_1)
	v_div_fmas_f32 v2, v2, v3, v4
	v_div_fixup_f32 v1, v2, s4, v1
	v_bfrev_b32_e32 v2, -2
	s_delay_alu instid0(VALU_DEP_2) | instskip(SKIP_1) | instid1(VALU_DEP_1)
	v_rndne_f32_e32 v1, v1
	s_wait_xcnt 0x0
	v_cmpx_nle_f32_e32 0x4f000000, v1
	s_cbranch_execz .LBB5_3
; %bb.5:                                ;   in Loop: Header=BB5_4 Depth=1
	v_bfrev_b32_e32 v2, 1
	s_mov_b32 s11, exec_lo
	v_cmpx_nge_f32_e32 0xcf000000, v1
	s_cbranch_execz .LBB5_2
; %bb.6:                                ;   in Loop: Header=BB5_4 Depth=1
	v_cvt_i32_f32_e32 v2, v1
	s_branch .LBB5_2
.LBB5_7:
	s_endpgm
	.section	.rodata,"a",@progbits
	.p2align	6, 0x0
	.amdhsa_kernel _Z35static_scaled_int8_azp_quant_kernelI12hip_bfloat16fiEvPKT_PaT0_T1_i
		.amdhsa_group_segment_fixed_size 0
		.amdhsa_private_segment_fixed_size 0
		.amdhsa_kernarg_size 288
		.amdhsa_user_sgpr_count 2
		.amdhsa_user_sgpr_dispatch_ptr 0
		.amdhsa_user_sgpr_queue_ptr 0
		.amdhsa_user_sgpr_kernarg_segment_ptr 1
		.amdhsa_user_sgpr_dispatch_id 0
		.amdhsa_user_sgpr_kernarg_preload_length 0
		.amdhsa_user_sgpr_kernarg_preload_offset 0
		.amdhsa_user_sgpr_private_segment_size 0
		.amdhsa_wavefront_size32 1
		.amdhsa_uses_dynamic_stack 0
		.amdhsa_enable_private_segment 0
		.amdhsa_system_sgpr_workgroup_id_x 1
		.amdhsa_system_sgpr_workgroup_id_y 0
		.amdhsa_system_sgpr_workgroup_id_z 0
		.amdhsa_system_sgpr_workgroup_info 0
		.amdhsa_system_vgpr_workitem_id 0
		.amdhsa_next_free_vgpr 7
		.amdhsa_next_free_sgpr 14
		.amdhsa_named_barrier_count 0
		.amdhsa_reserve_vcc 1
		.amdhsa_float_round_mode_32 0
		.amdhsa_float_round_mode_16_64 0
		.amdhsa_float_denorm_mode_32 3
		.amdhsa_float_denorm_mode_16_64 3
		.amdhsa_fp16_overflow 0
		.amdhsa_memory_ordered 1
		.amdhsa_forward_progress 1
		.amdhsa_inst_pref_size 4
		.amdhsa_round_robin_scheduling 0
		.amdhsa_exception_fp_ieee_invalid_op 0
		.amdhsa_exception_fp_denorm_src 0
		.amdhsa_exception_fp_ieee_div_zero 0
		.amdhsa_exception_fp_ieee_overflow 0
		.amdhsa_exception_fp_ieee_underflow 0
		.amdhsa_exception_fp_ieee_inexact 0
		.amdhsa_exception_int_div_zero 0
	.end_amdhsa_kernel
	.section	.text._Z35static_scaled_int8_azp_quant_kernelI12hip_bfloat16fiEvPKT_PaT0_T1_i,"axG",@progbits,_Z35static_scaled_int8_azp_quant_kernelI12hip_bfloat16fiEvPKT_PaT0_T1_i,comdat
.Lfunc_end5:
	.size	_Z35static_scaled_int8_azp_quant_kernelI12hip_bfloat16fiEvPKT_PaT0_T1_i, .Lfunc_end5-_Z35static_scaled_int8_azp_quant_kernelI12hip_bfloat16fiEvPKT_PaT0_T1_i
                                        ; -- End function
	.set _Z35static_scaled_int8_azp_quant_kernelI12hip_bfloat16fiEvPKT_PaT0_T1_i.num_vgpr, 7
	.set _Z35static_scaled_int8_azp_quant_kernelI12hip_bfloat16fiEvPKT_PaT0_T1_i.num_agpr, 0
	.set _Z35static_scaled_int8_azp_quant_kernelI12hip_bfloat16fiEvPKT_PaT0_T1_i.numbered_sgpr, 14
	.set _Z35static_scaled_int8_azp_quant_kernelI12hip_bfloat16fiEvPKT_PaT0_T1_i.num_named_barrier, 0
	.set _Z35static_scaled_int8_azp_quant_kernelI12hip_bfloat16fiEvPKT_PaT0_T1_i.private_seg_size, 0
	.set _Z35static_scaled_int8_azp_quant_kernelI12hip_bfloat16fiEvPKT_PaT0_T1_i.uses_vcc, 1
	.set _Z35static_scaled_int8_azp_quant_kernelI12hip_bfloat16fiEvPKT_PaT0_T1_i.uses_flat_scratch, 0
	.set _Z35static_scaled_int8_azp_quant_kernelI12hip_bfloat16fiEvPKT_PaT0_T1_i.has_dyn_sized_stack, 0
	.set _Z35static_scaled_int8_azp_quant_kernelI12hip_bfloat16fiEvPKT_PaT0_T1_i.has_recursion, 0
	.set _Z35static_scaled_int8_azp_quant_kernelI12hip_bfloat16fiEvPKT_PaT0_T1_i.has_indirect_call, 0
	.section	.AMDGPU.csdata,"",@progbits
; Kernel info:
; codeLenInByte = 400
; TotalNumSgprs: 16
; NumVgprs: 7
; ScratchSize: 0
; MemoryBound: 0
; FloatMode: 240
; IeeeMode: 1
; LDSByteSize: 0 bytes/workgroup (compile time only)
; SGPRBlocks: 0
; VGPRBlocks: 0
; NumSGPRsForWavesPerEU: 16
; NumVGPRsForWavesPerEU: 7
; NamedBarCnt: 0
; Occupancy: 16
; WaveLimiterHint : 0
; COMPUTE_PGM_RSRC2:SCRATCH_EN: 0
; COMPUTE_PGM_RSRC2:USER_SGPR: 2
; COMPUTE_PGM_RSRC2:TRAP_HANDLER: 0
; COMPUTE_PGM_RSRC2:TGID_X_EN: 1
; COMPUTE_PGM_RSRC2:TGID_Y_EN: 0
; COMPUTE_PGM_RSRC2:TGID_Z_EN: 0
; COMPUTE_PGM_RSRC2:TIDIG_COMP_CNT: 0
	.section	.text._Z32dynamic_scaled_int8_quant_kernelI12hip_bfloat16fEvPKT_PaPT0_i,"axG",@progbits,_Z32dynamic_scaled_int8_quant_kernelI12hip_bfloat16fEvPKT_PaPT0_i,comdat
	.protected	_Z32dynamic_scaled_int8_quant_kernelI12hip_bfloat16fEvPKT_PaPT0_i ; -- Begin function _Z32dynamic_scaled_int8_quant_kernelI12hip_bfloat16fEvPKT_PaPT0_i
	.globl	_Z32dynamic_scaled_int8_quant_kernelI12hip_bfloat16fEvPKT_PaPT0_i
	.p2align	8
	.type	_Z32dynamic_scaled_int8_quant_kernelI12hip_bfloat16fEvPKT_PaPT0_i,@function
_Z32dynamic_scaled_int8_quant_kernelI12hip_bfloat16fEvPKT_PaPT0_i: ; @_Z32dynamic_scaled_int8_quant_kernelI12hip_bfloat16fEvPKT_PaPT0_i
; %bb.0:
	s_clause 0x1
	s_load_b32 s6, s[0:1], 0x18
	s_load_b64 s[4:5], s[0:1], 0x0
	s_bfe_u32 s2, ttmp6, 0x4000c
	s_and_b32 s3, ttmp6, 15
	s_add_co_i32 s2, s2, 1
	s_getreg_b32 s7, hwreg(HW_REG_IB_STS2, 6, 4)
	s_mul_i32 s2, ttmp9, s2
	s_mov_b32 s13, 0
	s_add_co_i32 s3, s3, s2
	s_cmp_eq_u32 s7, 0
	s_add_nc_u64 s[14:15], s[0:1], 32
	s_cselect_b32 s12, ttmp9, s3
                                        ; implicit-def: $sgpr3
	s_wait_kmcnt 0x0
	s_ashr_i32 s7, s6, 31
	v_cmp_gt_i32_e64 s2, s6, v0
	s_mul_u64 s[10:11], s[6:7], s[12:13]
	s_mov_b32 s7, exec_lo
	s_lshl_b64 s[8:9], s[10:11], 1
	v_cmpx_le_i32_e64 s6, v0
	s_xor_b32 s7, exec_lo, s7
	s_cbranch_execz .LBB6_2
; %bb.1:
	s_load_b32 s3, s[14:15], 0xc
	s_wait_kmcnt 0x0
	s_and_b32 s3, s3, 0xffff
.LBB6_2:
	s_or_saveexec_b32 s7, s7
	v_dual_mov_b32 v2, 0 :: v_dual_mov_b32 v1, s3
	s_add_nc_u64 s[8:9], s[4:5], s[8:9]
	s_xor_b32 exec_lo, exec_lo, s7
	s_cbranch_execz .LBB6_6
; %bb.3:
	s_load_b32 s3, s[14:15], 0xc
	v_dual_mov_b32 v2, 0 :: v_dual_mov_b32 v1, v0
	s_mov_b32 s5, 0
	s_wait_kmcnt 0x0
	s_and_b32 s4, s3, 0xffff
.LBB6_4:                                ; =>This Inner Loop Header: Depth=1
	global_load_u16 v3, v1, s[8:9] scale_offset
	s_wait_loadcnt 0x0
	v_dual_add_nc_u32 v1, s4, v1 :: v_dual_lshlrev_b32 v3, 16, v3
	s_delay_alu instid0(VALU_DEP_1) | instskip(SKIP_1) | instid1(VALU_DEP_3)
	v_cmp_lt_f32_e32 vcc_lo, 0, v3
	v_cndmask_b32_e64 v3, -v3, v3, vcc_lo
	v_cmp_le_i32_e32 vcc_lo, s6, v1
	s_delay_alu instid0(VALU_DEP_2)
	v_cmp_gt_f32_e64 s3, v3, v2
	s_or_b32 s5, vcc_lo, s5
	v_cndmask_b32_e64 v2, v2, v3, s3
	s_and_not1_b32 exec_lo, exec_lo, s5
	s_cbranch_execnz .LBB6_4
; %bb.5:
	s_or_b32 exec_lo, exec_lo, s5
	v_mov_b32_e32 v1, s4
.LBB6_6:
	s_or_b32 exec_lo, exec_lo, s7
	v_mbcnt_lo_u32_b32 v3, -1, 0
	s_load_b64 s[14:15], s[0:1], 0x8
	s_delay_alu instid0(VALU_DEP_1) | instskip(SKIP_3) | instid1(VALU_DEP_3)
	v_cmp_ne_u32_e32 vcc_lo, 31, v3
	v_cmp_gt_u32_e64 s3, 28, v3
	v_add_co_ci_u32_e64 v4, null, 0, v3, vcc_lo
	v_cmp_gt_u32_e32 vcc_lo, 30, v3
	v_cndmask_b32_e64 v10, 0, 4, s3
	s_delay_alu instid0(VALU_DEP_3) | instskip(SKIP_2) | instid1(VALU_DEP_2)
	v_lshlrev_b32_e32 v5, 2, v4
	v_and_b32_e32 v4, 0x3e0, v0
	v_cndmask_b32_e64 v7, 0, 2, vcc_lo
	v_sub_nc_u32_e64 v14, v1, v4 clamp
	v_add_nc_u32_e32 v4, 1, v3
	ds_bpermute_b32 v6, v5, v2
	v_add_lshl_u32 v7, v7, v3, 2
	s_wait_dscnt 0x0
	v_cmp_lt_f32_e32 vcc_lo, v2, v6
	v_cndmask_b32_e32 v6, v2, v6, vcc_lo
	v_cmp_lt_u32_e32 vcc_lo, v4, v14
	s_delay_alu instid0(VALU_DEP_2) | instskip(SKIP_3) | instid1(VALU_DEP_1)
	v_dual_cndmask_b32 v8, v2, v6, vcc_lo :: v_dual_add_nc_u32 v6, 2, v3
	ds_bpermute_b32 v9, v7, v8
	s_wait_dscnt 0x0
	v_cmp_lt_f32_e64 s3, v8, v9
	v_cndmask_b32_e64 v11, v8, v9, s3
	v_cmp_lt_u32_e64 s3, v6, v14
	v_add_lshl_u32 v9, v10, v3, 2
	s_delay_alu instid0(VALU_DEP_2)
	v_cndmask_b32_e64 v10, v8, v11, s3
	v_cmp_gt_u32_e64 s3, 24, v3
	ds_bpermute_b32 v11, v9, v10
	v_cndmask_b32_e64 v12, 0, 8, s3
	s_wait_dscnt 0x0
	v_cmp_lt_f32_e64 s3, v10, v11
	s_delay_alu instid0(VALU_DEP_1) | instskip(SKIP_2) | instid1(VALU_DEP_2)
	v_cndmask_b32_e64 v13, v10, v11, s3
	v_add_nc_u32_e32 v8, 4, v3
	v_add_lshl_u32 v11, v12, v3, 2
	v_cmp_lt_u32_e64 s3, v8, v14
	s_delay_alu instid0(VALU_DEP_1) | instskip(SKIP_3) | instid1(VALU_DEP_1)
	v_dual_cndmask_b32 v13, v10, v13, s3 :: v_dual_add_nc_u32 v10, 8, v3
	ds_bpermute_b32 v12, v11, v13
	s_wait_dscnt 0x0
	v_cmp_lt_f32_e64 s3, v13, v12
	v_cndmask_b32_e64 v15, v13, v12, s3
	v_cmp_lt_u32_e64 s3, v10, v14
	v_lshl_or_b32 v12, v3, 2, 64
	s_delay_alu instid0(VALU_DEP_2)
	v_cndmask_b32_e64 v15, v13, v15, s3
	v_add_nc_u32_e32 v13, 16, v3
	ds_bpermute_b32 v16, v12, v15
	v_cmp_lt_u32_e64 s3, v13, v14
	s_wait_dscnt 0x0
	v_cmp_lt_f32_e64 s4, v15, v16
	s_and_b32 s3, s3, s4
	s_delay_alu instid0(SALU_CYCLE_1) | instskip(SKIP_1) | instid1(VALU_DEP_1)
	v_cndmask_b32_e64 v14, v15, v16, s3
	s_mov_b32 s3, exec_lo
	v_cndmask_b32_e32 v2, v2, v14, vcc_lo
	v_cmpx_eq_u32_e32 0, v3
; %bb.7:
	v_lshrrev_b32_e32 v14, 3, v0
	s_delay_alu instid0(VALU_DEP_1)
	v_and_b32_e32 v14, 0x7c, v14
	ds_store_b32 v14, v2
; %bb.8:
	s_or_b32 exec_lo, exec_lo, s3
	s_delay_alu instid0(SALU_CYCLE_1)
	s_mov_b32 s5, exec_lo
	s_wait_dscnt 0x0
	s_barrier_signal -1
	s_barrier_wait -1
	v_cmpx_gt_u32_e32 32, v0
	s_cbranch_execz .LBB6_10
; %bb.9:
	v_lshlrev_b32_e32 v2, 2, v3
	ds_load_b32 v2, v2
	s_wait_dscnt 0x0
	ds_bpermute_b32 v3, v5, v2
	v_add_nc_u32_e32 v5, 31, v1
	s_wait_dscnt 0x0
	v_cmp_lt_f32_e32 vcc_lo, v2, v3
	s_delay_alu instid0(VALU_DEP_2) | instskip(NEXT) | instid1(VALU_DEP_1)
	v_dual_lshrrev_b32 v5, 5, v5 :: v_dual_cndmask_b32 v3, v2, v3, vcc_lo
	v_cmp_lt_u32_e32 vcc_lo, v4, v5
	s_delay_alu instid0(VALU_DEP_2) | instskip(SKIP_3) | instid1(VALU_DEP_1)
	v_cndmask_b32_e32 v3, v2, v3, vcc_lo
	ds_bpermute_b32 v4, v7, v3
	s_wait_dscnt 0x0
	v_cmp_lt_f32_e64 s3, v3, v4
	v_cndmask_b32_e64 v4, v3, v4, s3
	v_cmp_lt_u32_e64 s3, v6, v5
	s_delay_alu instid0(VALU_DEP_1) | instskip(SKIP_3) | instid1(VALU_DEP_1)
	v_cndmask_b32_e64 v3, v3, v4, s3
	ds_bpermute_b32 v4, v9, v3
	s_wait_dscnt 0x0
	v_cmp_lt_f32_e64 s3, v3, v4
	v_cndmask_b32_e64 v4, v3, v4, s3
	v_cmp_lt_u32_e64 s3, v8, v5
	s_delay_alu instid0(VALU_DEP_1) | instskip(SKIP_3) | instid1(VALU_DEP_1)
	v_cndmask_b32_e64 v3, v3, v4, s3
	ds_bpermute_b32 v4, v11, v3
	s_wait_dscnt 0x0
	v_cmp_lt_f32_e64 s3, v3, v4
	v_cndmask_b32_e64 v4, v3, v4, s3
	v_cmp_lt_u32_e64 s3, v10, v5
	s_delay_alu instid0(VALU_DEP_1)
	v_cndmask_b32_e64 v3, v3, v4, s3
	v_cmp_lt_u32_e64 s3, v13, v5
	ds_bpermute_b32 v4, v12, v3
	s_wait_dscnt 0x0
	v_cmp_lt_f32_e64 s4, v3, v4
	s_and_b32 s3, s3, s4
	s_delay_alu instid0(SALU_CYCLE_1) | instskip(NEXT) | instid1(VALU_DEP_1)
	v_cndmask_b32_e64 v3, v3, v4, s3
	v_cndmask_b32_e32 v2, v2, v3, vcc_lo
.LBB6_10:
	s_or_b32 exec_lo, exec_lo, s5
	s_delay_alu instid0(SALU_CYCLE_1)
	s_mov_b32 s3, exec_lo
	v_cmpx_eq_u32_e32 0, v0
	s_cbranch_execz .LBB6_12
; %bb.11:
	v_div_scale_f32 v3, null, 0x42fe0000, 0x42fe0000, v2
	s_wait_xcnt 0x0
	s_load_b64 s[0:1], s[0:1], 0x10
	s_lshl_b64 s[4:5], s[12:13], 2
	s_delay_alu instid0(VALU_DEP_1) | instskip(SKIP_1) | instid1(TRANS32_DEP_1)
	v_rcp_f32_e32 v4, v3
	v_nop
	v_fma_f32 v5, -v3, v4, 1.0
	s_delay_alu instid0(VALU_DEP_1) | instskip(SKIP_3) | instid1(VALU_DEP_1)
	v_fmac_f32_e32 v4, v5, v4
	v_div_scale_f32 v5, vcc_lo, v2, 0x42fe0000, v2
	s_wait_kmcnt 0x0
	s_add_nc_u64 s[0:1], s[0:1], s[4:5]
	v_mul_f32_e32 v6, v5, v4
	s_delay_alu instid0(VALU_DEP_1) | instskip(NEXT) | instid1(VALU_DEP_1)
	v_fma_f32 v7, -v3, v6, v5
	v_fmac_f32_e32 v6, v7, v4
	s_delay_alu instid0(VALU_DEP_1) | instskip(NEXT) | instid1(VALU_DEP_1)
	v_fma_f32 v3, -v3, v6, v5
	v_div_fmas_f32 v3, v3, v4, v6
	v_mov_b32_e32 v4, 0
	s_delay_alu instid0(VALU_DEP_2)
	v_div_fixup_f32 v3, v3, 0x42fe0000, v2
	ds_store_b32 v4, v2 offset:128
	global_store_b32 v4, v3, s[0:1]
.LBB6_12:
	s_wait_xcnt 0x0
	s_or_b32 exec_lo, exec_lo, s3
	s_wait_storecnt_dscnt 0x0
	s_barrier_signal -1
	s_barrier_wait -1
	s_and_saveexec_b32 s0, s2
	s_cbranch_execz .LBB6_15
; %bb.13:
	v_mov_b32_e32 v2, 0
	s_wait_kmcnt 0x0
	s_add_nc_u64 s[0:1], s[14:15], s[10:11]
	s_mov_b32 s2, 0
	ds_load_b32 v2, v2 offset:128
	s_wait_dscnt 0x0
	v_div_scale_f32 v3, null, v2, v2, 0x42fe0000
	s_delay_alu instid0(VALU_DEP_1)
	v_rcp_f32_e32 v4, v3
	v_nop
	v_xor_b32_e32 v3, 0x80000000, v3
	s_delay_alu instid0(TRANS32_DEP_1) | instid1(VALU_DEP_1)
	v_fma_f32 v5, v3, v4, 1.0
	s_delay_alu instid0(VALU_DEP_1) | instskip(SKIP_1) | instid1(VALU_DEP_1)
	v_fmac_f32_e32 v4, v5, v4
	v_div_scale_f32 v5, vcc_lo, 0x42fe0000, v2, 0x42fe0000
	v_mul_f32_e32 v6, v5, v4
	s_delay_alu instid0(VALU_DEP_1) | instskip(NEXT) | instid1(VALU_DEP_1)
	v_fma_f32 v7, v3, v6, v5
	v_fmac_f32_e32 v6, v7, v4
	s_delay_alu instid0(VALU_DEP_1) | instskip(NEXT) | instid1(VALU_DEP_1)
	v_fmac_f32_e32 v5, v3, v6
	v_div_fmas_f32 v3, v5, v4, v6
	s_delay_alu instid0(VALU_DEP_1)
	v_div_fixup_f32 v2, v3, v2, 0x42fe0000
.LBB6_14:                               ; =>This Inner Loop Header: Depth=1
	global_load_u16 v3, v0, s[8:9] scale_offset
	s_wait_loadcnt 0x0
	v_lshlrev_b32_e32 v3, 16, v3
	s_delay_alu instid0(VALU_DEP_1) | instskip(NEXT) | instid1(VALU_DEP_1)
	v_mul_f32_e32 v3, v2, v3
	v_rndne_f32_e32 v3, v3
	s_delay_alu instid0(VALU_DEP_1) | instskip(SKIP_2) | instid1(VALU_DEP_2)
	v_cmp_nlt_f32_e32 vcc_lo, 0x42fe0000, v3
	v_cndmask_b32_e32 v4, 0x42fe0000, v3, vcc_lo
	v_cmp_ngt_f32_e32 vcc_lo, 0xc3000000, v3
	v_cndmask_b32_e32 v3, 0xc3000000, v4, vcc_lo
	s_delay_alu instid0(VALU_DEP_1) | instskip(SKIP_3) | instid1(VALU_DEP_1)
	v_cvt_i32_f32_e32 v3, v3
	global_store_b8 v0, v3, s[0:1]
	s_wait_xcnt 0x0
	v_add_nc_u32_e32 v0, v0, v1
	v_cmp_le_i32_e32 vcc_lo, s6, v0
	s_or_b32 s2, vcc_lo, s2
	s_delay_alu instid0(SALU_CYCLE_1)
	s_and_not1_b32 exec_lo, exec_lo, s2
	s_cbranch_execnz .LBB6_14
.LBB6_15:
	s_endpgm
	.section	.rodata,"a",@progbits
	.p2align	6, 0x0
	.amdhsa_kernel _Z32dynamic_scaled_int8_quant_kernelI12hip_bfloat16fEvPKT_PaPT0_i
		.amdhsa_group_segment_fixed_size 132
		.amdhsa_private_segment_fixed_size 0
		.amdhsa_kernarg_size 288
		.amdhsa_user_sgpr_count 2
		.amdhsa_user_sgpr_dispatch_ptr 0
		.amdhsa_user_sgpr_queue_ptr 0
		.amdhsa_user_sgpr_kernarg_segment_ptr 1
		.amdhsa_user_sgpr_dispatch_id 0
		.amdhsa_user_sgpr_kernarg_preload_length 0
		.amdhsa_user_sgpr_kernarg_preload_offset 0
		.amdhsa_user_sgpr_private_segment_size 0
		.amdhsa_wavefront_size32 1
		.amdhsa_uses_dynamic_stack 0
		.amdhsa_enable_private_segment 0
		.amdhsa_system_sgpr_workgroup_id_x 1
		.amdhsa_system_sgpr_workgroup_id_y 0
		.amdhsa_system_sgpr_workgroup_id_z 0
		.amdhsa_system_sgpr_workgroup_info 0
		.amdhsa_system_vgpr_workitem_id 0
		.amdhsa_next_free_vgpr 17
		.amdhsa_next_free_sgpr 16
		.amdhsa_named_barrier_count 0
		.amdhsa_reserve_vcc 1
		.amdhsa_float_round_mode_32 0
		.amdhsa_float_round_mode_16_64 0
		.amdhsa_float_denorm_mode_32 3
		.amdhsa_float_denorm_mode_16_64 3
		.amdhsa_fp16_overflow 0
		.amdhsa_memory_ordered 1
		.amdhsa_forward_progress 1
		.amdhsa_inst_pref_size 12
		.amdhsa_round_robin_scheduling 0
		.amdhsa_exception_fp_ieee_invalid_op 0
		.amdhsa_exception_fp_denorm_src 0
		.amdhsa_exception_fp_ieee_div_zero 0
		.amdhsa_exception_fp_ieee_overflow 0
		.amdhsa_exception_fp_ieee_underflow 0
		.amdhsa_exception_fp_ieee_inexact 0
		.amdhsa_exception_int_div_zero 0
	.end_amdhsa_kernel
	.section	.text._Z32dynamic_scaled_int8_quant_kernelI12hip_bfloat16fEvPKT_PaPT0_i,"axG",@progbits,_Z32dynamic_scaled_int8_quant_kernelI12hip_bfloat16fEvPKT_PaPT0_i,comdat
.Lfunc_end6:
	.size	_Z32dynamic_scaled_int8_quant_kernelI12hip_bfloat16fEvPKT_PaPT0_i, .Lfunc_end6-_Z32dynamic_scaled_int8_quant_kernelI12hip_bfloat16fEvPKT_PaPT0_i
                                        ; -- End function
	.set _Z32dynamic_scaled_int8_quant_kernelI12hip_bfloat16fEvPKT_PaPT0_i.num_vgpr, 17
	.set _Z32dynamic_scaled_int8_quant_kernelI12hip_bfloat16fEvPKT_PaPT0_i.num_agpr, 0
	.set _Z32dynamic_scaled_int8_quant_kernelI12hip_bfloat16fEvPKT_PaPT0_i.numbered_sgpr, 16
	.set _Z32dynamic_scaled_int8_quant_kernelI12hip_bfloat16fEvPKT_PaPT0_i.num_named_barrier, 0
	.set _Z32dynamic_scaled_int8_quant_kernelI12hip_bfloat16fEvPKT_PaPT0_i.private_seg_size, 0
	.set _Z32dynamic_scaled_int8_quant_kernelI12hip_bfloat16fEvPKT_PaPT0_i.uses_vcc, 1
	.set _Z32dynamic_scaled_int8_quant_kernelI12hip_bfloat16fEvPKT_PaPT0_i.uses_flat_scratch, 0
	.set _Z32dynamic_scaled_int8_quant_kernelI12hip_bfloat16fEvPKT_PaPT0_i.has_dyn_sized_stack, 0
	.set _Z32dynamic_scaled_int8_quant_kernelI12hip_bfloat16fEvPKT_PaPT0_i.has_recursion, 0
	.set _Z32dynamic_scaled_int8_quant_kernelI12hip_bfloat16fEvPKT_PaPT0_i.has_indirect_call, 0
	.section	.AMDGPU.csdata,"",@progbits
; Kernel info:
; codeLenInByte = 1448
; TotalNumSgprs: 18
; NumVgprs: 17
; ScratchSize: 0
; MemoryBound: 0
; FloatMode: 240
; IeeeMode: 1
; LDSByteSize: 132 bytes/workgroup (compile time only)
; SGPRBlocks: 0
; VGPRBlocks: 1
; NumSGPRsForWavesPerEU: 18
; NumVGPRsForWavesPerEU: 17
; NamedBarCnt: 0
; Occupancy: 16
; WaveLimiterHint : 0
; COMPUTE_PGM_RSRC2:SCRATCH_EN: 0
; COMPUTE_PGM_RSRC2:USER_SGPR: 2
; COMPUTE_PGM_RSRC2:TRAP_HANDLER: 0
; COMPUTE_PGM_RSRC2:TGID_X_EN: 1
; COMPUTE_PGM_RSRC2:TGID_Y_EN: 0
; COMPUTE_PGM_RSRC2:TGID_Z_EN: 0
; COMPUTE_PGM_RSRC2:TIDIG_COMP_CNT: 0
	.section	.text._Z36dynamic_scaled_int8_azp_quant_kernelI12hip_bfloat16fiEvPKT_PaPT0_PT1_i,"axG",@progbits,_Z36dynamic_scaled_int8_azp_quant_kernelI12hip_bfloat16fiEvPKT_PaPT0_PT1_i,comdat
	.protected	_Z36dynamic_scaled_int8_azp_quant_kernelI12hip_bfloat16fiEvPKT_PaPT0_PT1_i ; -- Begin function _Z36dynamic_scaled_int8_azp_quant_kernelI12hip_bfloat16fiEvPKT_PaPT0_PT1_i
	.globl	_Z36dynamic_scaled_int8_azp_quant_kernelI12hip_bfloat16fiEvPKT_PaPT0_PT1_i
	.p2align	8
	.type	_Z36dynamic_scaled_int8_azp_quant_kernelI12hip_bfloat16fiEvPKT_PaPT0_PT1_i,@function
_Z36dynamic_scaled_int8_azp_quant_kernelI12hip_bfloat16fiEvPKT_PaPT0_PT1_i: ; @_Z36dynamic_scaled_int8_azp_quant_kernelI12hip_bfloat16fiEvPKT_PaPT0_PT1_i
; %bb.0:
	s_clause 0x1
	s_load_b32 s12, s[0:1], 0x20
	s_load_b64 s[4:5], s[0:1], 0x0
	s_bfe_u32 s2, ttmp6, 0x4000c
	s_and_b32 s3, ttmp6, 15
	s_add_co_i32 s2, s2, 1
	s_getreg_b32 s6, hwreg(HW_REG_IB_STS2, 6, 4)
	s_mul_i32 s2, ttmp9, s2
	s_mov_b32 s19, 0
	s_add_co_i32 s3, s3, s2
	s_cmp_eq_u32 s6, 0
	s_add_nc_u64 s[6:7], s[0:1], 40
	s_cselect_b32 s18, ttmp9, s3
	s_mov_b32 s10, exec_lo
                                        ; implicit-def: $sgpr3
	s_wait_kmcnt 0x0
	s_ashr_i32 s13, s12, 31
	v_cmp_gt_i32_e64 s2, s12, v0
	s_mul_u64 s[16:17], s[12:13], s[18:19]
	s_delay_alu instid0(SALU_CYCLE_1)
	s_lshl_b64 s[8:9], s[16:17], 1
	v_cmpx_le_i32_e64 s12, v0
	s_xor_b32 s10, exec_lo, s10
	s_cbranch_execz .LBB7_2
; %bb.1:
	s_load_b32 s3, s[6:7], 0xc
	s_wait_kmcnt 0x0
	s_and_b32 s3, s3, 0xffff
.LBB7_2:
	s_or_saveexec_b32 s10, s10
	v_dual_mov_b32 v1, 0x7f7fffff :: v_dual_mov_b32 v4, s3
	v_mov_b32_e32 v13, 0x800000
	s_add_nc_u64 s[14:15], s[4:5], s[8:9]
	s_xor_b32 exec_lo, exec_lo, s10
	s_cbranch_execz .LBB7_6
; %bb.3:
	s_load_b32 s3, s[6:7], 0xc
	v_dual_mov_b32 v1, 0x7f7fffff :: v_dual_mov_b32 v2, v0
	v_mov_b32_e32 v13, 0x800000
	s_mov_b32 s5, 0
	s_wait_kmcnt 0x0
	s_and_b32 s4, s3, 0xffff
.LBB7_4:                                ; =>This Inner Loop Header: Depth=1
	global_load_u16 v3, v2, s[14:15] scale_offset
	s_wait_loadcnt 0x0
	v_dual_add_nc_u32 v2, s4, v2 :: v_dual_lshlrev_b32 v3, 16, v3
	s_delay_alu instid0(VALU_DEP_1) | instskip(NEXT) | instid1(VALU_DEP_2)
	v_cmp_le_i32_e32 vcc_lo, s12, v2
	v_cmp_lt_f32_e64 s3, v13, v3
	s_or_b32 s5, vcc_lo, s5
	v_cndmask_b32_e64 v13, v13, v3, s3
	v_cmp_gt_f32_e64 s3, v1, v3
	s_delay_alu instid0(VALU_DEP_1)
	v_cndmask_b32_e64 v1, v1, v3, s3
	s_and_not1_b32 exec_lo, exec_lo, s5
	s_cbranch_execnz .LBB7_4
; %bb.5:
	s_or_b32 exec_lo, exec_lo, s5
	v_mov_b32_e32 v4, s4
.LBB7_6:
	s_or_b32 exec_lo, exec_lo, s10
	v_mbcnt_lo_u32_b32 v14, -1, 0
	s_load_b64 s[20:21], s[0:1], 0x8
	s_delay_alu instid0(VALU_DEP_1) | instskip(SKIP_4) | instid1(VALU_DEP_4)
	v_cmp_ne_u32_e32 vcc_lo, 31, v14
	v_cmp_gt_u32_e64 s3, 28, v14
	v_cmp_gt_u32_e64 s4, 24, v14
	v_add_co_ci_u32_e64 v2, null, 0, v14, vcc_lo
	v_cmp_gt_u32_e32 vcc_lo, 30, v14
	v_cndmask_b32_e64 v9, 0, 4, s3
	s_delay_alu instid0(VALU_DEP_4) | instskip(NEXT) | instid1(VALU_DEP_4)
	v_cndmask_b32_e64 v11, 0, 8, s4
	v_lshlrev_b32_e32 v3, 2, v2
	v_and_b32_e32 v2, 0x3e0, v0
	v_cndmask_b32_e64 v6, 0, 2, vcc_lo
	ds_bpermute_b32 v5, v3, v13
	v_sub_nc_u32_e64 v15, v4, v2 clamp
	v_add_lshl_u32 v6, v6, v14, 2
	s_wait_dscnt 0x0
	v_cmp_lt_f32_e32 vcc_lo, v13, v5
	v_dual_cndmask_b32 v5, v13, v5 :: v_dual_add_nc_u32 v2, 1, v14
	s_delay_alu instid0(VALU_DEP_1) | instskip(NEXT) | instid1(VALU_DEP_2)
	v_cmp_lt_u32_e32 vcc_lo, v2, v15
	v_cndmask_b32_e32 v7, v13, v5, vcc_lo
	ds_bpermute_b32 v8, v6, v7
	s_wait_dscnt 0x0
	v_cmp_lt_f32_e64 s3, v7, v8
	s_delay_alu instid0(VALU_DEP_1) | instskip(NEXT) | instid1(VALU_DEP_1)
	v_dual_add_nc_u32 v5, 2, v14 :: v_dual_cndmask_b32 v10, v7, v8, s3
	v_cmp_lt_u32_e64 s3, v5, v15
	v_add_lshl_u32 v8, v9, v14, 2
	s_delay_alu instid0(VALU_DEP_2) | instskip(SKIP_3) | instid1(VALU_DEP_1)
	v_cndmask_b32_e64 v9, v7, v10, s3
	ds_bpermute_b32 v10, v8, v9
	s_wait_dscnt 0x0
	v_cmp_lt_f32_e64 s4, v9, v10
	v_cndmask_b32_e64 v12, v9, v10, s4
	v_add_nc_u32_e32 v7, 4, v14
	v_add_lshl_u32 v10, v11, v14, 2
	s_delay_alu instid0(VALU_DEP_2) | instskip(NEXT) | instid1(VALU_DEP_1)
	v_cmp_lt_u32_e64 s4, v7, v15
	v_cndmask_b32_e64 v12, v9, v12, s4
	ds_bpermute_b32 v11, v10, v12
	s_wait_dscnt 0x0
	v_cmp_lt_f32_e64 s5, v12, v11
	s_delay_alu instid0(VALU_DEP_1) | instskip(SKIP_1) | instid1(VALU_DEP_2)
	v_dual_cndmask_b32 v16, v12, v11, s5 :: v_dual_add_nc_u32 v9, 8, v14
	v_lshl_or_b32 v11, v14, 2, 64
	v_cmp_lt_u32_e64 s6, v9, v15
	s_delay_alu instid0(VALU_DEP_1)
	v_dual_cndmask_b32 v16, v12, v16, s6 :: v_dual_add_nc_u32 v12, 16, v14
	ds_bpermute_b32 v17, v11, v16
	v_cmp_lt_u32_e64 s8, v12, v15
	s_wait_dscnt 0x0
	v_cmp_lt_f32_e64 s5, v16, v17
	s_and_b32 s5, s8, s5
	s_delay_alu instid0(SALU_CYCLE_1) | instskip(SKIP_1) | instid1(VALU_DEP_2)
	v_cndmask_b32_e64 v15, v16, v17, s5
	v_cmp_eq_u32_e64 s5, 0, v14
	v_dual_cndmask_b32 v13, v13, v15, vcc_lo :: v_dual_lshrrev_b32 v15, 3, v0
	s_and_saveexec_b32 s7, s5
; %bb.7:
	s_delay_alu instid0(VALU_DEP_1)
	v_and_b32_e32 v16, 0x7c, v15
	ds_store_b32 v16, v13
; %bb.8:
	s_or_b32 exec_lo, exec_lo, s7
	v_cmp_gt_u32_e64 s7, 32, v0
	v_dual_lshlrev_b32 v16, 2, v14 :: v_dual_add_nc_u32 v14, 31, v4
	s_wait_dscnt 0x0
	s_barrier_signal -1
	s_barrier_wait -1
	s_and_saveexec_b32 s13, s7
	s_cbranch_execz .LBB7_10
; %bb.9:
	ds_load_b32 v13, v16
	s_wait_dscnt 0x0
	ds_bpermute_b32 v17, v3, v13
	s_wait_dscnt 0x0
	v_cmp_lt_f32_e64 s9, v13, v17
	s_delay_alu instid0(VALU_DEP_1) | instskip(NEXT) | instid1(VALU_DEP_1)
	v_dual_lshrrev_b32 v18, 5, v14 :: v_dual_cndmask_b32 v17, v13, v17, s9
	v_cmp_lt_u32_e64 s9, v2, v18
	s_delay_alu instid0(VALU_DEP_1) | instskip(SKIP_3) | instid1(VALU_DEP_1)
	v_cndmask_b32_e64 v17, v13, v17, s9
	ds_bpermute_b32 v19, v6, v17
	s_wait_dscnt 0x0
	v_cmp_lt_f32_e64 s10, v17, v19
	v_cndmask_b32_e64 v19, v17, v19, s10
	v_cmp_lt_u32_e64 s10, v5, v18
	s_delay_alu instid0(VALU_DEP_1) | instskip(SKIP_3) | instid1(VALU_DEP_1)
	v_cndmask_b32_e64 v17, v17, v19, s10
	ds_bpermute_b32 v19, v8, v17
	s_wait_dscnt 0x0
	v_cmp_lt_f32_e64 s10, v17, v19
	v_cndmask_b32_e64 v19, v17, v19, s10
	;; [unrolled: 7-line block ×3, first 2 shown]
	v_cmp_lt_u32_e64 s10, v9, v18
	s_delay_alu instid0(VALU_DEP_1)
	v_cndmask_b32_e64 v17, v17, v19, s10
	v_cmp_lt_u32_e64 s10, v12, v18
	ds_bpermute_b32 v19, v11, v17
	s_wait_dscnt 0x0
	v_cmp_lt_f32_e64 s11, v17, v19
	s_and_b32 s10, s10, s11
	s_delay_alu instid0(SALU_CYCLE_1) | instskip(NEXT) | instid1(VALU_DEP_1)
	v_cndmask_b32_e64 v17, v17, v19, s10
	v_cndmask_b32_e64 v13, v13, v17, s9
.LBB7_10:
	s_or_b32 exec_lo, exec_lo, s13
	ds_bpermute_b32 v17, v3, v1
	s_wait_dscnt 0x0
	s_barrier_signal -1
	s_barrier_wait -1
	v_cmp_gt_f32_e64 s9, v1, v17
	s_delay_alu instid0(VALU_DEP_1) | instskip(NEXT) | instid1(VALU_DEP_1)
	v_cndmask_b32_e64 v17, v1, v17, s9
	v_cndmask_b32_e32 v17, v1, v17, vcc_lo
	ds_bpermute_b32 v18, v6, v17
	s_wait_dscnt 0x0
	v_cmp_gt_f32_e64 s9, v17, v18
	s_delay_alu instid0(VALU_DEP_1) | instskip(NEXT) | instid1(VALU_DEP_1)
	v_cndmask_b32_e64 v18, v17, v18, s9
	v_cndmask_b32_e64 v17, v17, v18, s3
	ds_bpermute_b32 v18, v8, v17
	s_wait_dscnt 0x0
	v_cmp_gt_f32_e64 s3, v17, v18
	s_delay_alu instid0(VALU_DEP_1) | instskip(NEXT) | instid1(VALU_DEP_1)
	v_cndmask_b32_e64 v18, v17, v18, s3
	v_cndmask_b32_e64 v17, v17, v18, s4
	;; [unrolled: 6-line block ×3, first 2 shown]
	ds_bpermute_b32 v18, v11, v17
	s_wait_dscnt 0x0
	v_cmp_gt_f32_e64 s3, v17, v18
	s_and_b32 s3, s8, s3
	s_delay_alu instid0(SALU_CYCLE_1) | instskip(NEXT) | instid1(VALU_DEP_1)
	v_cndmask_b32_e64 v17, v17, v18, s3
	v_cndmask_b32_e32 v1, v1, v17, vcc_lo
	s_and_saveexec_b32 s3, s5
; %bb.11:
	v_and_b32_e32 v15, 0x7c, v15
	ds_store_b32 v15, v1
; %bb.12:
	s_or_b32 exec_lo, exec_lo, s3
	s_wait_dscnt 0x0
	s_barrier_signal -1
	s_barrier_wait -1
	s_and_saveexec_b32 s5, s7
	s_cbranch_execz .LBB7_14
; %bb.13:
	ds_load_b32 v1, v16
	s_wait_dscnt 0x0
	ds_bpermute_b32 v3, v3, v1
	s_wait_dscnt 0x0
	v_cmp_gt_f32_e32 vcc_lo, v1, v3
	v_dual_cndmask_b32 v3, v1, v3 :: v_dual_lshrrev_b32 v14, 5, v14
	s_delay_alu instid0(VALU_DEP_1) | instskip(NEXT) | instid1(VALU_DEP_2)
	v_cmp_lt_u32_e32 vcc_lo, v2, v14
	v_cndmask_b32_e32 v2, v1, v3, vcc_lo
	ds_bpermute_b32 v3, v6, v2
	s_wait_dscnt 0x0
	v_cmp_gt_f32_e64 s3, v2, v3
	s_delay_alu instid0(VALU_DEP_1) | instskip(SKIP_1) | instid1(VALU_DEP_1)
	v_cndmask_b32_e64 v3, v2, v3, s3
	v_cmp_lt_u32_e64 s3, v5, v14
	v_cndmask_b32_e64 v2, v2, v3, s3
	ds_bpermute_b32 v3, v8, v2
	s_wait_dscnt 0x0
	v_cmp_gt_f32_e64 s3, v2, v3
	s_delay_alu instid0(VALU_DEP_1) | instskip(SKIP_1) | instid1(VALU_DEP_1)
	v_cndmask_b32_e64 v3, v2, v3, s3
	v_cmp_lt_u32_e64 s3, v7, v14
	v_cndmask_b32_e64 v2, v2, v3, s3
	;; [unrolled: 7-line block ×3, first 2 shown]
	v_cmp_lt_u32_e64 s3, v12, v14
	ds_bpermute_b32 v3, v11, v2
	s_wait_dscnt 0x0
	v_cmp_gt_f32_e64 s4, v2, v3
	s_and_b32 s3, s3, s4
	s_delay_alu instid0(SALU_CYCLE_1) | instskip(NEXT) | instid1(VALU_DEP_1)
	v_cndmask_b32_e64 v2, v2, v3, s3
	v_cndmask_b32_e32 v1, v1, v2, vcc_lo
.LBB7_14:
	s_or_b32 exec_lo, exec_lo, s5
	s_delay_alu instid0(SALU_CYCLE_1)
	s_mov_b32 s3, exec_lo
	v_cmpx_eq_u32_e32 0, v0
	s_cbranch_execz .LBB7_16
; %bb.15:
	v_sub_f32_e32 v2, v13, v1
	s_load_b128 s[4:7], s[0:1], 0x10
	s_wait_xcnt 0x0
	s_lshl_b64 s[0:1], s[18:19], 2
	s_delay_alu instid0(VALU_DEP_1) | instskip(SKIP_1) | instid1(VALU_DEP_2)
	v_div_scale_f32 v3, null, 0x437f0000, 0x437f0000, v2
	v_div_scale_f32 v7, vcc_lo, v2, 0x437f0000, v2
	v_rcp_f32_e32 v5, v3
	v_nop
	s_delay_alu instid0(TRANS32_DEP_1) | instskip(SKIP_2) | instid1(VALU_DEP_1)
	v_fma_f32 v6, -v3, v5, 1.0
	s_wait_kmcnt 0x0
	s_add_nc_u64 s[4:5], s[4:5], s[0:1]
	v_fmac_f32_e32 v5, v6, v5
	s_add_nc_u64 s[0:1], s[6:7], s[0:1]
	s_delay_alu instid0(VALU_DEP_1) | instskip(NEXT) | instid1(VALU_DEP_1)
	v_mul_f32_e32 v6, v7, v5
	v_fma_f32 v8, -v3, v6, v7
	s_delay_alu instid0(VALU_DEP_1) | instskip(NEXT) | instid1(VALU_DEP_1)
	v_fmac_f32_e32 v6, v8, v5
	v_fma_f32 v3, -v3, v6, v7
	s_delay_alu instid0(VALU_DEP_1) | instskip(NEXT) | instid1(VALU_DEP_1)
	v_div_fmas_f32 v3, v3, v5, v6
	v_div_fixup_f32 v3, v3, 0x437f0000, v2
	s_delay_alu instid0(VALU_DEP_1) | instskip(SKIP_1) | instid1(VALU_DEP_2)
	v_div_scale_f32 v2, null, v3, v3, v1
	v_div_scale_f32 v7, vcc_lo, v1, v3, v1
	v_rcp_f32_e32 v5, v2
	v_nop
	s_delay_alu instid0(TRANS32_DEP_1) | instskip(NEXT) | instid1(VALU_DEP_1)
	v_fma_f32 v6, -v2, v5, 1.0
	v_fmac_f32_e32 v5, v6, v5
	s_delay_alu instid0(VALU_DEP_1) | instskip(NEXT) | instid1(VALU_DEP_1)
	v_mul_f32_e32 v6, v7, v5
	v_fma_f32 v8, -v2, v6, v7
	s_delay_alu instid0(VALU_DEP_1) | instskip(NEXT) | instid1(VALU_DEP_1)
	v_fmac_f32_e32 v6, v8, v5
	v_fma_f32 v2, -v2, v6, v7
	s_delay_alu instid0(VALU_DEP_1) | instskip(SKIP_1) | instid1(VALU_DEP_2)
	v_div_fmas_f32 v2, v2, v5, v6
	v_mov_b32_e32 v5, 0
	v_div_fixup_f32 v1, v2, v3, v1
	s_delay_alu instid0(VALU_DEP_1) | instskip(NEXT) | instid1(VALU_DEP_1)
	v_sub_f32_e32 v1, 0xc3000000, v1
	v_rndne_f32_e32 v1, v1
	s_delay_alu instid0(VALU_DEP_1)
	v_cvt_i32_f32_e32 v2, v1
	ds_store_b64 v5, v[2:3] offset:128
	s_clause 0x1
	global_store_b32 v5, v3, s[4:5]
	global_store_b32 v5, v2, s[0:1]
.LBB7_16:
	s_wait_xcnt 0x0
	s_or_b32 exec_lo, exec_lo, s3
	s_wait_storecnt_dscnt 0x0
	s_barrier_signal -1
	s_barrier_wait -1
	s_and_saveexec_b32 s0, s2
	s_cbranch_execz .LBB7_23
; %bb.17:
	v_mov_b32_e32 v1, 0
	s_wait_kmcnt 0x0
	s_add_nc_u64 s[0:1], s[20:21], s[16:17]
	s_mov_b32 s2, 0
	s_movk_i32 s3, 0xff80
	ds_load_b64 v[2:3], v1 offset:128
	s_branch .LBB7_20
.LBB7_18:                               ;   in Loop: Header=BB7_20 Depth=1
	s_or_b32 exec_lo, exec_lo, s5
.LBB7_19:                               ;   in Loop: Header=BB7_20 Depth=1
	s_delay_alu instid0(SALU_CYCLE_1) | instskip(SKIP_1) | instid1(VALU_DEP_1)
	s_or_b32 exec_lo, exec_lo, s4
	v_ashrrev_i32_e32 v1, 31, v0
	v_add_nc_u64_e32 v[6:7], s[0:1], v[0:1]
	v_dual_add_nc_u32 v0, v0, v4 :: v_dual_add_nc_u32 v1, v5, v2
	s_delay_alu instid0(VALU_DEP_1) | instskip(NEXT) | instid1(VALU_DEP_2)
	v_cmp_le_i32_e32 vcc_lo, s12, v0
	v_med3_i32 v1, v1, s3, 0x7f
	s_or_b32 s2, vcc_lo, s2
	global_store_b8 v[6:7], v1, off
	s_wait_xcnt 0x0
	s_and_not1_b32 exec_lo, exec_lo, s2
	s_cbranch_execz .LBB7_23
.LBB7_20:                               ; =>This Inner Loop Header: Depth=1
	global_load_u16 v1, v0, s[14:15] scale_offset
	s_mov_b32 s4, exec_lo
	s_wait_loadcnt 0x0
	v_lshlrev_b32_e32 v1, 16, v1
	s_wait_dscnt 0x0
	s_delay_alu instid0(VALU_DEP_1) | instskip(NEXT) | instid1(VALU_DEP_1)
	v_div_scale_f32 v5, null, v3, v3, v1
	v_rcp_f32_e32 v6, v5
	v_nop
	s_delay_alu instid0(TRANS32_DEP_1) | instskip(NEXT) | instid1(VALU_DEP_1)
	v_fma_f32 v7, -v5, v6, 1.0
	v_fmac_f32_e32 v6, v7, v6
	v_div_scale_f32 v8, vcc_lo, v1, v3, v1
	s_delay_alu instid0(VALU_DEP_1) | instskip(NEXT) | instid1(VALU_DEP_1)
	v_mul_f32_e32 v7, v8, v6
	v_fma_f32 v9, -v5, v7, v8
	s_delay_alu instid0(VALU_DEP_1) | instskip(NEXT) | instid1(VALU_DEP_1)
	v_fmac_f32_e32 v7, v9, v6
	v_fma_f32 v5, -v5, v7, v8
	s_delay_alu instid0(VALU_DEP_1) | instskip(NEXT) | instid1(VALU_DEP_1)
	v_div_fmas_f32 v5, v5, v6, v7
	v_div_fixup_f32 v1, v5, v3, v1
	v_bfrev_b32_e32 v5, -2
	s_delay_alu instid0(VALU_DEP_2) | instskip(SKIP_1) | instid1(VALU_DEP_1)
	v_rndne_f32_e32 v1, v1
	s_wait_xcnt 0x0
	v_cmpx_nle_f32_e32 0x4f000000, v1
	s_cbranch_execz .LBB7_19
; %bb.21:                               ;   in Loop: Header=BB7_20 Depth=1
	v_bfrev_b32_e32 v5, 1
	s_mov_b32 s5, exec_lo
	v_cmpx_nge_f32_e32 0xcf000000, v1
	s_cbranch_execz .LBB7_18
; %bb.22:                               ;   in Loop: Header=BB7_20 Depth=1
	v_cvt_i32_f32_e32 v5, v1
	s_branch .LBB7_18
.LBB7_23:
	s_endpgm
	.section	.rodata,"a",@progbits
	.p2align	6, 0x0
	.amdhsa_kernel _Z36dynamic_scaled_int8_azp_quant_kernelI12hip_bfloat16fiEvPKT_PaPT0_PT1_i
		.amdhsa_group_segment_fixed_size 136
		.amdhsa_private_segment_fixed_size 0
		.amdhsa_kernarg_size 296
		.amdhsa_user_sgpr_count 2
		.amdhsa_user_sgpr_dispatch_ptr 0
		.amdhsa_user_sgpr_queue_ptr 0
		.amdhsa_user_sgpr_kernarg_segment_ptr 1
		.amdhsa_user_sgpr_dispatch_id 0
		.amdhsa_user_sgpr_kernarg_preload_length 0
		.amdhsa_user_sgpr_kernarg_preload_offset 0
		.amdhsa_user_sgpr_private_segment_size 0
		.amdhsa_wavefront_size32 1
		.amdhsa_uses_dynamic_stack 0
		.amdhsa_enable_private_segment 0
		.amdhsa_system_sgpr_workgroup_id_x 1
		.amdhsa_system_sgpr_workgroup_id_y 0
		.amdhsa_system_sgpr_workgroup_id_z 0
		.amdhsa_system_sgpr_workgroup_info 0
		.amdhsa_system_vgpr_workitem_id 0
		.amdhsa_next_free_vgpr 20
		.amdhsa_next_free_sgpr 22
		.amdhsa_named_barrier_count 0
		.amdhsa_reserve_vcc 1
		.amdhsa_float_round_mode_32 0
		.amdhsa_float_round_mode_16_64 0
		.amdhsa_float_denorm_mode_32 3
		.amdhsa_float_denorm_mode_16_64 3
		.amdhsa_fp16_overflow 0
		.amdhsa_memory_ordered 1
		.amdhsa_forward_progress 1
		.amdhsa_inst_pref_size 17
		.amdhsa_round_robin_scheduling 0
		.amdhsa_exception_fp_ieee_invalid_op 0
		.amdhsa_exception_fp_denorm_src 0
		.amdhsa_exception_fp_ieee_div_zero 0
		.amdhsa_exception_fp_ieee_overflow 0
		.amdhsa_exception_fp_ieee_underflow 0
		.amdhsa_exception_fp_ieee_inexact 0
		.amdhsa_exception_int_div_zero 0
	.end_amdhsa_kernel
	.section	.text._Z36dynamic_scaled_int8_azp_quant_kernelI12hip_bfloat16fiEvPKT_PaPT0_PT1_i,"axG",@progbits,_Z36dynamic_scaled_int8_azp_quant_kernelI12hip_bfloat16fiEvPKT_PaPT0_PT1_i,comdat
.Lfunc_end7:
	.size	_Z36dynamic_scaled_int8_azp_quant_kernelI12hip_bfloat16fiEvPKT_PaPT0_PT1_i, .Lfunc_end7-_Z36dynamic_scaled_int8_azp_quant_kernelI12hip_bfloat16fiEvPKT_PaPT0_PT1_i
                                        ; -- End function
	.set _Z36dynamic_scaled_int8_azp_quant_kernelI12hip_bfloat16fiEvPKT_PaPT0_PT1_i.num_vgpr, 20
	.set _Z36dynamic_scaled_int8_azp_quant_kernelI12hip_bfloat16fiEvPKT_PaPT0_PT1_i.num_agpr, 0
	.set _Z36dynamic_scaled_int8_azp_quant_kernelI12hip_bfloat16fiEvPKT_PaPT0_PT1_i.numbered_sgpr, 22
	.set _Z36dynamic_scaled_int8_azp_quant_kernelI12hip_bfloat16fiEvPKT_PaPT0_PT1_i.num_named_barrier, 0
	.set _Z36dynamic_scaled_int8_azp_quant_kernelI12hip_bfloat16fiEvPKT_PaPT0_PT1_i.private_seg_size, 0
	.set _Z36dynamic_scaled_int8_azp_quant_kernelI12hip_bfloat16fiEvPKT_PaPT0_PT1_i.uses_vcc, 1
	.set _Z36dynamic_scaled_int8_azp_quant_kernelI12hip_bfloat16fiEvPKT_PaPT0_PT1_i.uses_flat_scratch, 0
	.set _Z36dynamic_scaled_int8_azp_quant_kernelI12hip_bfloat16fiEvPKT_PaPT0_PT1_i.has_dyn_sized_stack, 0
	.set _Z36dynamic_scaled_int8_azp_quant_kernelI12hip_bfloat16fiEvPKT_PaPT0_PT1_i.has_recursion, 0
	.set _Z36dynamic_scaled_int8_azp_quant_kernelI12hip_bfloat16fiEvPKT_PaPT0_PT1_i.has_indirect_call, 0
	.section	.AMDGPU.csdata,"",@progbits
; Kernel info:
; codeLenInByte = 2176
; TotalNumSgprs: 24
; NumVgprs: 20
; ScratchSize: 0
; MemoryBound: 0
; FloatMode: 240
; IeeeMode: 1
; LDSByteSize: 136 bytes/workgroup (compile time only)
; SGPRBlocks: 0
; VGPRBlocks: 1
; NumSGPRsForWavesPerEU: 24
; NumVGPRsForWavesPerEU: 20
; NamedBarCnt: 0
; Occupancy: 16
; WaveLimiterHint : 0
; COMPUTE_PGM_RSRC2:SCRATCH_EN: 0
; COMPUTE_PGM_RSRC2:USER_SGPR: 2
; COMPUTE_PGM_RSRC2:TRAP_HANDLER: 0
; COMPUTE_PGM_RSRC2:TGID_X_EN: 1
; COMPUTE_PGM_RSRC2:TGID_Y_EN: 0
; COMPUTE_PGM_RSRC2:TGID_Z_EN: 0
; COMPUTE_PGM_RSRC2:TIDIG_COMP_CNT: 0
	.section	.text._Z31static_scaled_int8_quant_kernelIffEvPKT_PaT0_i,"axG",@progbits,_Z31static_scaled_int8_quant_kernelIffEvPKT_PaT0_i,comdat
	.protected	_Z31static_scaled_int8_quant_kernelIffEvPKT_PaT0_i ; -- Begin function _Z31static_scaled_int8_quant_kernelIffEvPKT_PaT0_i
	.globl	_Z31static_scaled_int8_quant_kernelIffEvPKT_PaT0_i
	.p2align	8
	.type	_Z31static_scaled_int8_quant_kernelIffEvPKT_PaT0_i,@function
_Z31static_scaled_int8_quant_kernelIffEvPKT_PaT0_i: ; @_Z31static_scaled_int8_quant_kernelIffEvPKT_PaT0_i
; %bb.0:
	s_load_b64 s[2:3], s[0:1], 0x10
	s_mov_b32 s4, exec_lo
	s_wait_kmcnt 0x0
	v_cmpx_gt_i32_e64 s3, v0
	s_cbranch_execz .LBB8_3
; %bb.1:
	s_clause 0x1
	s_load_b128 s[8:11], s[0:1], 0x0
	s_load_b32 s12, s[0:1], 0x24
	s_wait_xcnt 0x0
	s_bfe_u32 s0, ttmp6, 0x4000c
	s_and_b32 s4, ttmp6, 15
	s_add_co_i32 s0, s0, 1
	s_getreg_b32 s5, hwreg(HW_REG_IB_STS2, 6, 4)
	s_mul_i32 s0, ttmp9, s0
	s_mov_b32 s1, 0
	s_add_co_i32 s0, s4, s0
	s_cmp_eq_u32 s5, 0
	s_mov_b32 s4, s3
	s_cselect_b32 s0, ttmp9, s0
	s_ashr_i32 s5, s3, 31
	s_delay_alu instid0(SALU_CYCLE_1) | instskip(NEXT) | instid1(SALU_CYCLE_1)
	s_mul_u64 s[4:5], s[4:5], s[0:1]
	s_lshl_b64 s[6:7], s[4:5], 2
	s_wait_kmcnt 0x0
	s_add_nc_u64 s[4:5], s[10:11], s[4:5]
	s_add_nc_u64 s[6:7], s[8:9], s[6:7]
	s_and_b32 s0, s12, 0xffff
.LBB8_2:                                ; =>This Inner Loop Header: Depth=1
	global_load_b32 v1, v0, s[6:7] scale_offset
	s_wait_loadcnt 0x0
	v_div_scale_f32 v2, null, s2, s2, v1
	v_div_scale_f32 v5, vcc_lo, v1, s2, v1
	s_delay_alu instid0(VALU_DEP_2) | instskip(SKIP_1) | instid1(TRANS32_DEP_1)
	v_rcp_f32_e32 v3, v2
	v_nop
	v_fma_f32 v4, -v2, v3, 1.0
	s_delay_alu instid0(VALU_DEP_1) | instskip(NEXT) | instid1(VALU_DEP_1)
	v_fmac_f32_e32 v3, v4, v3
	v_mul_f32_e32 v4, v5, v3
	s_delay_alu instid0(VALU_DEP_1) | instskip(NEXT) | instid1(VALU_DEP_1)
	v_fma_f32 v6, -v2, v4, v5
	v_fmac_f32_e32 v4, v6, v3
	s_delay_alu instid0(VALU_DEP_1) | instskip(NEXT) | instid1(VALU_DEP_1)
	v_fma_f32 v2, -v2, v4, v5
	v_div_fmas_f32 v2, v2, v3, v4
	s_delay_alu instid0(VALU_DEP_1) | instskip(NEXT) | instid1(VALU_DEP_1)
	v_div_fixup_f32 v1, v2, s2, v1
	v_rndne_f32_e32 v1, v1
	s_delay_alu instid0(VALU_DEP_1) | instskip(SKIP_2) | instid1(VALU_DEP_2)
	v_cmp_nlt_f32_e32 vcc_lo, 0x42fe0000, v1
	v_cndmask_b32_e32 v2, 0x42fe0000, v1, vcc_lo
	v_cmp_ngt_f32_e32 vcc_lo, 0xc3000000, v1
	v_cndmask_b32_e32 v1, 0xc3000000, v2, vcc_lo
	s_delay_alu instid0(VALU_DEP_1) | instskip(SKIP_3) | instid1(VALU_DEP_1)
	v_cvt_i32_f32_e32 v1, v1
	global_store_b8 v0, v1, s[4:5]
	s_wait_xcnt 0x0
	v_add_nc_u32_e32 v0, s0, v0
	v_cmp_le_i32_e32 vcc_lo, s3, v0
	s_or_b32 s1, vcc_lo, s1
	s_delay_alu instid0(SALU_CYCLE_1)
	s_and_not1_b32 exec_lo, exec_lo, s1
	s_cbranch_execnz .LBB8_2
.LBB8_3:
	s_endpgm
	.section	.rodata,"a",@progbits
	.p2align	6, 0x0
	.amdhsa_kernel _Z31static_scaled_int8_quant_kernelIffEvPKT_PaT0_i
		.amdhsa_group_segment_fixed_size 0
		.amdhsa_private_segment_fixed_size 0
		.amdhsa_kernarg_size 280
		.amdhsa_user_sgpr_count 2
		.amdhsa_user_sgpr_dispatch_ptr 0
		.amdhsa_user_sgpr_queue_ptr 0
		.amdhsa_user_sgpr_kernarg_segment_ptr 1
		.amdhsa_user_sgpr_dispatch_id 0
		.amdhsa_user_sgpr_kernarg_preload_length 0
		.amdhsa_user_sgpr_kernarg_preload_offset 0
		.amdhsa_user_sgpr_private_segment_size 0
		.amdhsa_wavefront_size32 1
		.amdhsa_uses_dynamic_stack 0
		.amdhsa_enable_private_segment 0
		.amdhsa_system_sgpr_workgroup_id_x 1
		.amdhsa_system_sgpr_workgroup_id_y 0
		.amdhsa_system_sgpr_workgroup_id_z 0
		.amdhsa_system_sgpr_workgroup_info 0
		.amdhsa_system_vgpr_workitem_id 0
		.amdhsa_next_free_vgpr 7
		.amdhsa_next_free_sgpr 13
		.amdhsa_named_barrier_count 0
		.amdhsa_reserve_vcc 1
		.amdhsa_float_round_mode_32 0
		.amdhsa_float_round_mode_16_64 0
		.amdhsa_float_denorm_mode_32 3
		.amdhsa_float_denorm_mode_16_64 3
		.amdhsa_fp16_overflow 0
		.amdhsa_memory_ordered 1
		.amdhsa_forward_progress 1
		.amdhsa_inst_pref_size 3
		.amdhsa_round_robin_scheduling 0
		.amdhsa_exception_fp_ieee_invalid_op 0
		.amdhsa_exception_fp_denorm_src 0
		.amdhsa_exception_fp_ieee_div_zero 0
		.amdhsa_exception_fp_ieee_overflow 0
		.amdhsa_exception_fp_ieee_underflow 0
		.amdhsa_exception_fp_ieee_inexact 0
		.amdhsa_exception_int_div_zero 0
	.end_amdhsa_kernel
	.section	.text._Z31static_scaled_int8_quant_kernelIffEvPKT_PaT0_i,"axG",@progbits,_Z31static_scaled_int8_quant_kernelIffEvPKT_PaT0_i,comdat
.Lfunc_end8:
	.size	_Z31static_scaled_int8_quant_kernelIffEvPKT_PaT0_i, .Lfunc_end8-_Z31static_scaled_int8_quant_kernelIffEvPKT_PaT0_i
                                        ; -- End function
	.set _Z31static_scaled_int8_quant_kernelIffEvPKT_PaT0_i.num_vgpr, 7
	.set _Z31static_scaled_int8_quant_kernelIffEvPKT_PaT0_i.num_agpr, 0
	.set _Z31static_scaled_int8_quant_kernelIffEvPKT_PaT0_i.numbered_sgpr, 13
	.set _Z31static_scaled_int8_quant_kernelIffEvPKT_PaT0_i.num_named_barrier, 0
	.set _Z31static_scaled_int8_quant_kernelIffEvPKT_PaT0_i.private_seg_size, 0
	.set _Z31static_scaled_int8_quant_kernelIffEvPKT_PaT0_i.uses_vcc, 1
	.set _Z31static_scaled_int8_quant_kernelIffEvPKT_PaT0_i.uses_flat_scratch, 0
	.set _Z31static_scaled_int8_quant_kernelIffEvPKT_PaT0_i.has_dyn_sized_stack, 0
	.set _Z31static_scaled_int8_quant_kernelIffEvPKT_PaT0_i.has_recursion, 0
	.set _Z31static_scaled_int8_quant_kernelIffEvPKT_PaT0_i.has_indirect_call, 0
	.section	.AMDGPU.csdata,"",@progbits
; Kernel info:
; codeLenInByte = 336
; TotalNumSgprs: 15
; NumVgprs: 7
; ScratchSize: 0
; MemoryBound: 0
; FloatMode: 240
; IeeeMode: 1
; LDSByteSize: 0 bytes/workgroup (compile time only)
; SGPRBlocks: 0
; VGPRBlocks: 0
; NumSGPRsForWavesPerEU: 15
; NumVGPRsForWavesPerEU: 7
; NamedBarCnt: 0
; Occupancy: 16
; WaveLimiterHint : 0
; COMPUTE_PGM_RSRC2:SCRATCH_EN: 0
; COMPUTE_PGM_RSRC2:USER_SGPR: 2
; COMPUTE_PGM_RSRC2:TRAP_HANDLER: 0
; COMPUTE_PGM_RSRC2:TGID_X_EN: 1
; COMPUTE_PGM_RSRC2:TGID_Y_EN: 0
; COMPUTE_PGM_RSRC2:TGID_Z_EN: 0
; COMPUTE_PGM_RSRC2:TIDIG_COMP_CNT: 0
	.section	.text._Z35static_scaled_int8_azp_quant_kernelIffiEvPKT_PaT0_T1_i,"axG",@progbits,_Z35static_scaled_int8_azp_quant_kernelIffiEvPKT_PaT0_T1_i,comdat
	.protected	_Z35static_scaled_int8_azp_quant_kernelIffiEvPKT_PaT0_T1_i ; -- Begin function _Z35static_scaled_int8_azp_quant_kernelIffiEvPKT_PaT0_T1_i
	.globl	_Z35static_scaled_int8_azp_quant_kernelIffiEvPKT_PaT0_T1_i
	.p2align	8
	.type	_Z35static_scaled_int8_azp_quant_kernelIffiEvPKT_PaT0_T1_i,@function
_Z35static_scaled_int8_azp_quant_kernelIffiEvPKT_PaT0_T1_i: ; @_Z35static_scaled_int8_azp_quant_kernelIffiEvPKT_PaT0_T1_i
; %bb.0:
	s_load_b96 s[4:6], s[0:1], 0x10
	s_mov_b32 s2, exec_lo
	s_wait_kmcnt 0x0
	v_cmpx_gt_i32_e64 s6, v0
	s_cbranch_execz .LBB9_7
; %bb.1:
	s_clause 0x1
	s_load_b128 s[8:11], s[0:1], 0x0
	s_load_b32 s7, s[0:1], 0x2c
	s_wait_xcnt 0x0
	s_bfe_u32 s0, ttmp6, 0x4000c
	s_and_b32 s2, ttmp6, 15
	s_add_co_i32 s0, s0, 1
	s_getreg_b32 s3, hwreg(HW_REG_IB_STS2, 6, 4)
	s_mul_i32 s0, ttmp9, s0
	s_mov_b32 s1, 0
	s_add_co_i32 s0, s2, s0
	s_cmp_eq_u32 s3, 0
	s_mov_b32 s2, s6
	s_cselect_b32 s0, ttmp9, s0
	s_ashr_i32 s3, s6, 31
	s_delay_alu instid0(SALU_CYCLE_1) | instskip(NEXT) | instid1(SALU_CYCLE_1)
	s_mul_u64 s[2:3], s[2:3], s[0:1]
	s_lshl_b64 s[12:13], s[2:3], 2
	s_wait_kmcnt 0x0
	s_add_nc_u64 s[2:3], s[10:11], s[2:3]
	s_add_nc_u64 s[8:9], s[8:9], s[12:13]
	s_and_b32 s0, s7, 0xffff
	s_movk_i32 s7, 0xff80
	s_branch .LBB9_4
.LBB9_2:                                ;   in Loop: Header=BB9_4 Depth=1
	s_or_b32 exec_lo, exec_lo, s11
.LBB9_3:                                ;   in Loop: Header=BB9_4 Depth=1
	s_delay_alu instid0(SALU_CYCLE_1) | instskip(SKIP_1) | instid1(VALU_DEP_1)
	s_or_b32 exec_lo, exec_lo, s10
	v_ashrrev_i32_e32 v1, 31, v0
	v_add_nc_u64_e32 v[4:5], s[2:3], v[0:1]
	v_dual_add_nc_u32 v0, s0, v0 :: v_dual_add_nc_u32 v1, s5, v2
	s_delay_alu instid0(VALU_DEP_1) | instskip(NEXT) | instid1(VALU_DEP_2)
	v_cmp_le_i32_e32 vcc_lo, s6, v0
	v_med3_i32 v1, v1, s7, 0x7f
	s_or_b32 s1, vcc_lo, s1
	global_store_b8 v[4:5], v1, off
	s_wait_xcnt 0x0
	s_and_not1_b32 exec_lo, exec_lo, s1
	s_cbranch_execz .LBB9_7
.LBB9_4:                                ; =>This Inner Loop Header: Depth=1
	global_load_b32 v1, v0, s[8:9] scale_offset
	s_mov_b32 s10, exec_lo
	s_wait_loadcnt 0x0
	v_div_scale_f32 v2, null, s4, s4, v1
	v_div_scale_f32 v5, vcc_lo, v1, s4, v1
	s_delay_alu instid0(VALU_DEP_2) | instskip(SKIP_1) | instid1(TRANS32_DEP_1)
	v_rcp_f32_e32 v3, v2
	v_nop
	v_fma_f32 v4, -v2, v3, 1.0
	s_delay_alu instid0(VALU_DEP_1) | instskip(NEXT) | instid1(VALU_DEP_1)
	v_fmac_f32_e32 v3, v4, v3
	v_mul_f32_e32 v4, v5, v3
	s_delay_alu instid0(VALU_DEP_1) | instskip(NEXT) | instid1(VALU_DEP_1)
	v_fma_f32 v6, -v2, v4, v5
	v_fmac_f32_e32 v4, v6, v3
	s_delay_alu instid0(VALU_DEP_1) | instskip(NEXT) | instid1(VALU_DEP_1)
	v_fma_f32 v2, -v2, v4, v5
	v_div_fmas_f32 v2, v2, v3, v4
	s_delay_alu instid0(VALU_DEP_1) | instskip(SKIP_1) | instid1(VALU_DEP_2)
	v_div_fixup_f32 v1, v2, s4, v1
	v_bfrev_b32_e32 v2, -2
	v_rndne_f32_e32 v1, v1
	s_wait_xcnt 0x0
	s_delay_alu instid0(VALU_DEP_1)
	v_cmpx_nle_f32_e32 0x4f000000, v1
	s_cbranch_execz .LBB9_3
; %bb.5:                                ;   in Loop: Header=BB9_4 Depth=1
	v_bfrev_b32_e32 v2, 1
	s_mov_b32 s11, exec_lo
	v_cmpx_nge_f32_e32 0xcf000000, v1
	s_cbranch_execz .LBB9_2
; %bb.6:                                ;   in Loop: Header=BB9_4 Depth=1
	v_cvt_i32_f32_e32 v2, v1
	s_branch .LBB9_2
.LBB9_7:
	s_endpgm
	.section	.rodata,"a",@progbits
	.p2align	6, 0x0
	.amdhsa_kernel _Z35static_scaled_int8_azp_quant_kernelIffiEvPKT_PaT0_T1_i
		.amdhsa_group_segment_fixed_size 0
		.amdhsa_private_segment_fixed_size 0
		.amdhsa_kernarg_size 288
		.amdhsa_user_sgpr_count 2
		.amdhsa_user_sgpr_dispatch_ptr 0
		.amdhsa_user_sgpr_queue_ptr 0
		.amdhsa_user_sgpr_kernarg_segment_ptr 1
		.amdhsa_user_sgpr_dispatch_id 0
		.amdhsa_user_sgpr_kernarg_preload_length 0
		.amdhsa_user_sgpr_kernarg_preload_offset 0
		.amdhsa_user_sgpr_private_segment_size 0
		.amdhsa_wavefront_size32 1
		.amdhsa_uses_dynamic_stack 0
		.amdhsa_enable_private_segment 0
		.amdhsa_system_sgpr_workgroup_id_x 1
		.amdhsa_system_sgpr_workgroup_id_y 0
		.amdhsa_system_sgpr_workgroup_id_z 0
		.amdhsa_system_sgpr_workgroup_info 0
		.amdhsa_system_vgpr_workitem_id 0
		.amdhsa_next_free_vgpr 7
		.amdhsa_next_free_sgpr 14
		.amdhsa_named_barrier_count 0
		.amdhsa_reserve_vcc 1
		.amdhsa_float_round_mode_32 0
		.amdhsa_float_round_mode_16_64 0
		.amdhsa_float_denorm_mode_32 3
		.amdhsa_float_denorm_mode_16_64 3
		.amdhsa_fp16_overflow 0
		.amdhsa_memory_ordered 1
		.amdhsa_forward_progress 1
		.amdhsa_inst_pref_size 4
		.amdhsa_round_robin_scheduling 0
		.amdhsa_exception_fp_ieee_invalid_op 0
		.amdhsa_exception_fp_denorm_src 0
		.amdhsa_exception_fp_ieee_div_zero 0
		.amdhsa_exception_fp_ieee_overflow 0
		.amdhsa_exception_fp_ieee_underflow 0
		.amdhsa_exception_fp_ieee_inexact 0
		.amdhsa_exception_int_div_zero 0
	.end_amdhsa_kernel
	.section	.text._Z35static_scaled_int8_azp_quant_kernelIffiEvPKT_PaT0_T1_i,"axG",@progbits,_Z35static_scaled_int8_azp_quant_kernelIffiEvPKT_PaT0_T1_i,comdat
.Lfunc_end9:
	.size	_Z35static_scaled_int8_azp_quant_kernelIffiEvPKT_PaT0_T1_i, .Lfunc_end9-_Z35static_scaled_int8_azp_quant_kernelIffiEvPKT_PaT0_T1_i
                                        ; -- End function
	.set _Z35static_scaled_int8_azp_quant_kernelIffiEvPKT_PaT0_T1_i.num_vgpr, 7
	.set _Z35static_scaled_int8_azp_quant_kernelIffiEvPKT_PaT0_T1_i.num_agpr, 0
	.set _Z35static_scaled_int8_azp_quant_kernelIffiEvPKT_PaT0_T1_i.numbered_sgpr, 14
	.set _Z35static_scaled_int8_azp_quant_kernelIffiEvPKT_PaT0_T1_i.num_named_barrier, 0
	.set _Z35static_scaled_int8_azp_quant_kernelIffiEvPKT_PaT0_T1_i.private_seg_size, 0
	.set _Z35static_scaled_int8_azp_quant_kernelIffiEvPKT_PaT0_T1_i.uses_vcc, 1
	.set _Z35static_scaled_int8_azp_quant_kernelIffiEvPKT_PaT0_T1_i.uses_flat_scratch, 0
	.set _Z35static_scaled_int8_azp_quant_kernelIffiEvPKT_PaT0_T1_i.has_dyn_sized_stack, 0
	.set _Z35static_scaled_int8_azp_quant_kernelIffiEvPKT_PaT0_T1_i.has_recursion, 0
	.set _Z35static_scaled_int8_azp_quant_kernelIffiEvPKT_PaT0_T1_i.has_indirect_call, 0
	.section	.AMDGPU.csdata,"",@progbits
; Kernel info:
; codeLenInByte = 396
; TotalNumSgprs: 16
; NumVgprs: 7
; ScratchSize: 0
; MemoryBound: 0
; FloatMode: 240
; IeeeMode: 1
; LDSByteSize: 0 bytes/workgroup (compile time only)
; SGPRBlocks: 0
; VGPRBlocks: 0
; NumSGPRsForWavesPerEU: 16
; NumVGPRsForWavesPerEU: 7
; NamedBarCnt: 0
; Occupancy: 16
; WaveLimiterHint : 0
; COMPUTE_PGM_RSRC2:SCRATCH_EN: 0
; COMPUTE_PGM_RSRC2:USER_SGPR: 2
; COMPUTE_PGM_RSRC2:TRAP_HANDLER: 0
; COMPUTE_PGM_RSRC2:TGID_X_EN: 1
; COMPUTE_PGM_RSRC2:TGID_Y_EN: 0
; COMPUTE_PGM_RSRC2:TGID_Z_EN: 0
; COMPUTE_PGM_RSRC2:TIDIG_COMP_CNT: 0
	.section	.text._Z32dynamic_scaled_int8_quant_kernelIffEvPKT_PaPT0_i,"axG",@progbits,_Z32dynamic_scaled_int8_quant_kernelIffEvPKT_PaPT0_i,comdat
	.protected	_Z32dynamic_scaled_int8_quant_kernelIffEvPKT_PaPT0_i ; -- Begin function _Z32dynamic_scaled_int8_quant_kernelIffEvPKT_PaPT0_i
	.globl	_Z32dynamic_scaled_int8_quant_kernelIffEvPKT_PaPT0_i
	.p2align	8
	.type	_Z32dynamic_scaled_int8_quant_kernelIffEvPKT_PaPT0_i,@function
_Z32dynamic_scaled_int8_quant_kernelIffEvPKT_PaPT0_i: ; @_Z32dynamic_scaled_int8_quant_kernelIffEvPKT_PaPT0_i
; %bb.0:
	s_clause 0x1
	s_load_b32 s6, s[0:1], 0x18
	s_load_b64 s[4:5], s[0:1], 0x0
	s_bfe_u32 s2, ttmp6, 0x4000c
	s_and_b32 s3, ttmp6, 15
	s_add_co_i32 s2, s2, 1
	s_getreg_b32 s7, hwreg(HW_REG_IB_STS2, 6, 4)
	s_mul_i32 s2, ttmp9, s2
	s_mov_b32 s13, 0
	s_add_co_i32 s3, s3, s2
	s_cmp_eq_u32 s7, 0
	s_add_nc_u64 s[14:15], s[0:1], 32
	s_cselect_b32 s12, ttmp9, s3
                                        ; implicit-def: $sgpr3
	s_wait_kmcnt 0x0
	s_ashr_i32 s7, s6, 31
	v_cmp_gt_i32_e64 s2, s6, v0
	s_mul_u64 s[10:11], s[6:7], s[12:13]
	s_mov_b32 s7, exec_lo
	s_lshl_b64 s[8:9], s[10:11], 2
	v_cmpx_le_i32_e64 s6, v0
	s_xor_b32 s7, exec_lo, s7
	s_cbranch_execz .LBB10_2
; %bb.1:
	s_load_b32 s3, s[14:15], 0xc
	s_wait_kmcnt 0x0
	s_and_b32 s3, s3, 0xffff
.LBB10_2:
	s_or_saveexec_b32 s7, s7
	v_dual_mov_b32 v2, 0 :: v_dual_mov_b32 v1, s3
	s_add_nc_u64 s[8:9], s[4:5], s[8:9]
	s_xor_b32 exec_lo, exec_lo, s7
	s_cbranch_execz .LBB10_6
; %bb.3:
	s_load_b32 s3, s[14:15], 0xc
	v_dual_mov_b32 v2, 0 :: v_dual_mov_b32 v1, v0
	s_mov_b32 s5, 0
	s_wait_kmcnt 0x0
	s_and_b32 s4, s3, 0xffff
.LBB10_4:                               ; =>This Inner Loop Header: Depth=1
	global_load_b32 v3, v1, s[8:9] scale_offset
	s_wait_loadcnt 0x0
	v_cmp_lt_f32_e32 vcc_lo, 0, v3
	v_dual_add_nc_u32 v1, s4, v1 :: v_dual_cndmask_b32 v3, -v3, v3, vcc_lo
	s_delay_alu instid0(VALU_DEP_1) | instskip(NEXT) | instid1(VALU_DEP_2)
	v_cmp_le_i32_e32 vcc_lo, s6, v1
	v_cmp_gt_f32_e64 s3, v3, v2
	s_or_b32 s5, vcc_lo, s5
	v_cndmask_b32_e64 v2, v2, v3, s3
	s_and_not1_b32 exec_lo, exec_lo, s5
	s_cbranch_execnz .LBB10_4
; %bb.5:
	s_or_b32 exec_lo, exec_lo, s5
	v_mov_b32_e32 v1, s4
.LBB10_6:
	s_or_b32 exec_lo, exec_lo, s7
	v_mbcnt_lo_u32_b32 v3, -1, 0
	s_load_b64 s[14:15], s[0:1], 0x8
	s_delay_alu instid0(VALU_DEP_1) | instskip(SKIP_3) | instid1(VALU_DEP_3)
	v_cmp_ne_u32_e32 vcc_lo, 31, v3
	v_cmp_gt_u32_e64 s3, 28, v3
	v_add_co_ci_u32_e64 v4, null, 0, v3, vcc_lo
	v_cmp_gt_u32_e32 vcc_lo, 30, v3
	v_cndmask_b32_e64 v10, 0, 4, s3
	s_delay_alu instid0(VALU_DEP_3) | instskip(SKIP_2) | instid1(VALU_DEP_2)
	v_lshlrev_b32_e32 v5, 2, v4
	v_and_b32_e32 v4, 0x3e0, v0
	v_cndmask_b32_e64 v7, 0, 2, vcc_lo
	v_sub_nc_u32_e64 v14, v1, v4 clamp
	v_add_nc_u32_e32 v4, 1, v3
	ds_bpermute_b32 v6, v5, v2
	v_add_lshl_u32 v7, v7, v3, 2
	s_wait_dscnt 0x0
	v_cmp_lt_f32_e32 vcc_lo, v2, v6
	v_cndmask_b32_e32 v6, v2, v6, vcc_lo
	v_cmp_lt_u32_e32 vcc_lo, v4, v14
	s_delay_alu instid0(VALU_DEP_2) | instskip(SKIP_3) | instid1(VALU_DEP_1)
	v_dual_cndmask_b32 v8, v2, v6, vcc_lo :: v_dual_add_nc_u32 v6, 2, v3
	ds_bpermute_b32 v9, v7, v8
	s_wait_dscnt 0x0
	v_cmp_lt_f32_e64 s3, v8, v9
	v_cndmask_b32_e64 v11, v8, v9, s3
	v_cmp_lt_u32_e64 s3, v6, v14
	v_add_lshl_u32 v9, v10, v3, 2
	s_delay_alu instid0(VALU_DEP_2)
	v_cndmask_b32_e64 v10, v8, v11, s3
	v_cmp_gt_u32_e64 s3, 24, v3
	ds_bpermute_b32 v11, v9, v10
	v_cndmask_b32_e64 v12, 0, 8, s3
	s_wait_dscnt 0x0
	v_cmp_lt_f32_e64 s3, v10, v11
	s_delay_alu instid0(VALU_DEP_1) | instskip(SKIP_2) | instid1(VALU_DEP_2)
	v_cndmask_b32_e64 v13, v10, v11, s3
	v_add_nc_u32_e32 v8, 4, v3
	v_add_lshl_u32 v11, v12, v3, 2
	v_cmp_lt_u32_e64 s3, v8, v14
	s_delay_alu instid0(VALU_DEP_1) | instskip(SKIP_3) | instid1(VALU_DEP_1)
	v_dual_cndmask_b32 v13, v10, v13, s3 :: v_dual_add_nc_u32 v10, 8, v3
	ds_bpermute_b32 v12, v11, v13
	s_wait_dscnt 0x0
	v_cmp_lt_f32_e64 s3, v13, v12
	v_cndmask_b32_e64 v15, v13, v12, s3
	v_cmp_lt_u32_e64 s3, v10, v14
	v_lshl_or_b32 v12, v3, 2, 64
	s_delay_alu instid0(VALU_DEP_2)
	v_cndmask_b32_e64 v15, v13, v15, s3
	v_add_nc_u32_e32 v13, 16, v3
	ds_bpermute_b32 v16, v12, v15
	v_cmp_lt_u32_e64 s3, v13, v14
	s_wait_dscnt 0x0
	v_cmp_lt_f32_e64 s4, v15, v16
	s_and_b32 s3, s3, s4
	s_delay_alu instid0(SALU_CYCLE_1) | instskip(SKIP_1) | instid1(VALU_DEP_1)
	v_cndmask_b32_e64 v14, v15, v16, s3
	s_mov_b32 s3, exec_lo
	v_cndmask_b32_e32 v2, v2, v14, vcc_lo
	v_cmpx_eq_u32_e32 0, v3
; %bb.7:
	v_lshrrev_b32_e32 v14, 3, v0
	s_delay_alu instid0(VALU_DEP_1)
	v_and_b32_e32 v14, 0x7c, v14
	ds_store_b32 v14, v2
; %bb.8:
	s_or_b32 exec_lo, exec_lo, s3
	s_delay_alu instid0(SALU_CYCLE_1)
	s_mov_b32 s5, exec_lo
	s_wait_dscnt 0x0
	s_barrier_signal -1
	s_barrier_wait -1
	v_cmpx_gt_u32_e32 32, v0
	s_cbranch_execz .LBB10_10
; %bb.9:
	v_lshlrev_b32_e32 v2, 2, v3
	ds_load_b32 v2, v2
	s_wait_dscnt 0x0
	ds_bpermute_b32 v3, v5, v2
	v_add_nc_u32_e32 v5, 31, v1
	s_wait_dscnt 0x0
	v_cmp_lt_f32_e32 vcc_lo, v2, v3
	s_delay_alu instid0(VALU_DEP_2) | instskip(NEXT) | instid1(VALU_DEP_1)
	v_dual_lshrrev_b32 v5, 5, v5 :: v_dual_cndmask_b32 v3, v2, v3, vcc_lo
	v_cmp_lt_u32_e32 vcc_lo, v4, v5
	s_delay_alu instid0(VALU_DEP_2) | instskip(SKIP_3) | instid1(VALU_DEP_1)
	v_cndmask_b32_e32 v3, v2, v3, vcc_lo
	ds_bpermute_b32 v4, v7, v3
	s_wait_dscnt 0x0
	v_cmp_lt_f32_e64 s3, v3, v4
	v_cndmask_b32_e64 v4, v3, v4, s3
	v_cmp_lt_u32_e64 s3, v6, v5
	s_delay_alu instid0(VALU_DEP_1) | instskip(SKIP_3) | instid1(VALU_DEP_1)
	v_cndmask_b32_e64 v3, v3, v4, s3
	ds_bpermute_b32 v4, v9, v3
	s_wait_dscnt 0x0
	v_cmp_lt_f32_e64 s3, v3, v4
	v_cndmask_b32_e64 v4, v3, v4, s3
	v_cmp_lt_u32_e64 s3, v8, v5
	s_delay_alu instid0(VALU_DEP_1) | instskip(SKIP_3) | instid1(VALU_DEP_1)
	v_cndmask_b32_e64 v3, v3, v4, s3
	ds_bpermute_b32 v4, v11, v3
	s_wait_dscnt 0x0
	v_cmp_lt_f32_e64 s3, v3, v4
	v_cndmask_b32_e64 v4, v3, v4, s3
	v_cmp_lt_u32_e64 s3, v10, v5
	s_delay_alu instid0(VALU_DEP_1)
	v_cndmask_b32_e64 v3, v3, v4, s3
	v_cmp_lt_u32_e64 s3, v13, v5
	ds_bpermute_b32 v4, v12, v3
	s_wait_dscnt 0x0
	v_cmp_lt_f32_e64 s4, v3, v4
	s_and_b32 s3, s3, s4
	s_delay_alu instid0(SALU_CYCLE_1) | instskip(NEXT) | instid1(VALU_DEP_1)
	v_cndmask_b32_e64 v3, v3, v4, s3
	v_cndmask_b32_e32 v2, v2, v3, vcc_lo
.LBB10_10:
	s_or_b32 exec_lo, exec_lo, s5
	s_delay_alu instid0(SALU_CYCLE_1)
	s_mov_b32 s3, exec_lo
	v_cmpx_eq_u32_e32 0, v0
	s_cbranch_execz .LBB10_12
; %bb.11:
	v_div_scale_f32 v3, null, 0x42fe0000, 0x42fe0000, v2
	s_wait_xcnt 0x0
	s_load_b64 s[0:1], s[0:1], 0x10
	s_lshl_b64 s[4:5], s[12:13], 2
	s_delay_alu instid0(VALU_DEP_1) | instskip(SKIP_1) | instid1(TRANS32_DEP_1)
	v_rcp_f32_e32 v4, v3
	v_nop
	v_fma_f32 v5, -v3, v4, 1.0
	s_delay_alu instid0(VALU_DEP_1) | instskip(SKIP_3) | instid1(VALU_DEP_1)
	v_fmac_f32_e32 v4, v5, v4
	v_div_scale_f32 v5, vcc_lo, v2, 0x42fe0000, v2
	s_wait_kmcnt 0x0
	s_add_nc_u64 s[0:1], s[0:1], s[4:5]
	v_mul_f32_e32 v6, v5, v4
	s_delay_alu instid0(VALU_DEP_1) | instskip(NEXT) | instid1(VALU_DEP_1)
	v_fma_f32 v7, -v3, v6, v5
	v_fmac_f32_e32 v6, v7, v4
	s_delay_alu instid0(VALU_DEP_1) | instskip(NEXT) | instid1(VALU_DEP_1)
	v_fma_f32 v3, -v3, v6, v5
	v_div_fmas_f32 v3, v3, v4, v6
	v_mov_b32_e32 v4, 0
	s_delay_alu instid0(VALU_DEP_2)
	v_div_fixup_f32 v3, v3, 0x42fe0000, v2
	ds_store_b32 v4, v2 offset:128
	global_store_b32 v4, v3, s[0:1]
.LBB10_12:
	s_wait_xcnt 0x0
	s_or_b32 exec_lo, exec_lo, s3
	s_wait_storecnt_dscnt 0x0
	s_barrier_signal -1
	s_barrier_wait -1
	s_and_saveexec_b32 s0, s2
	s_cbranch_execz .LBB10_15
; %bb.13:
	v_mov_b32_e32 v2, 0
	s_wait_kmcnt 0x0
	s_add_nc_u64 s[0:1], s[14:15], s[10:11]
	s_mov_b32 s2, 0
	ds_load_b32 v2, v2 offset:128
	s_wait_dscnt 0x0
	v_div_scale_f32 v3, null, v2, v2, 0x42fe0000
	s_delay_alu instid0(VALU_DEP_1)
	v_rcp_f32_e32 v4, v3
	v_nop
	v_xor_b32_e32 v3, 0x80000000, v3
	s_delay_alu instid0(TRANS32_DEP_1) | instid1(VALU_DEP_1)
	v_fma_f32 v5, v3, v4, 1.0
	s_delay_alu instid0(VALU_DEP_1) | instskip(SKIP_1) | instid1(VALU_DEP_1)
	v_fmac_f32_e32 v4, v5, v4
	v_div_scale_f32 v5, vcc_lo, 0x42fe0000, v2, 0x42fe0000
	v_mul_f32_e32 v6, v5, v4
	s_delay_alu instid0(VALU_DEP_1) | instskip(NEXT) | instid1(VALU_DEP_1)
	v_fma_f32 v7, v3, v6, v5
	v_fmac_f32_e32 v6, v7, v4
	s_delay_alu instid0(VALU_DEP_1) | instskip(NEXT) | instid1(VALU_DEP_1)
	v_fmac_f32_e32 v5, v3, v6
	v_div_fmas_f32 v3, v5, v4, v6
	s_delay_alu instid0(VALU_DEP_1)
	v_div_fixup_f32 v2, v3, v2, 0x42fe0000
.LBB10_14:                              ; =>This Inner Loop Header: Depth=1
	global_load_b32 v3, v0, s[8:9] scale_offset
	s_wait_loadcnt 0x0
	v_mul_f32_e32 v3, v2, v3
	s_delay_alu instid0(VALU_DEP_1) | instskip(NEXT) | instid1(VALU_DEP_1)
	v_rndne_f32_e32 v3, v3
	v_cmp_nlt_f32_e32 vcc_lo, 0x42fe0000, v3
	v_cndmask_b32_e32 v4, 0x42fe0000, v3, vcc_lo
	v_cmp_ngt_f32_e32 vcc_lo, 0xc3000000, v3
	s_delay_alu instid0(VALU_DEP_2) | instskip(NEXT) | instid1(VALU_DEP_1)
	v_cndmask_b32_e32 v3, 0xc3000000, v4, vcc_lo
	v_cvt_i32_f32_e32 v3, v3
	global_store_b8 v0, v3, s[0:1]
	s_wait_xcnt 0x0
	v_add_nc_u32_e32 v0, v0, v1
	s_delay_alu instid0(VALU_DEP_1) | instskip(SKIP_1) | instid1(SALU_CYCLE_1)
	v_cmp_le_i32_e32 vcc_lo, s6, v0
	s_or_b32 s2, vcc_lo, s2
	s_and_not1_b32 exec_lo, exec_lo, s2
	s_cbranch_execnz .LBB10_14
.LBB10_15:
	s_endpgm
	.section	.rodata,"a",@progbits
	.p2align	6, 0x0
	.amdhsa_kernel _Z32dynamic_scaled_int8_quant_kernelIffEvPKT_PaPT0_i
		.amdhsa_group_segment_fixed_size 132
		.amdhsa_private_segment_fixed_size 0
		.amdhsa_kernarg_size 288
		.amdhsa_user_sgpr_count 2
		.amdhsa_user_sgpr_dispatch_ptr 0
		.amdhsa_user_sgpr_queue_ptr 0
		.amdhsa_user_sgpr_kernarg_segment_ptr 1
		.amdhsa_user_sgpr_dispatch_id 0
		.amdhsa_user_sgpr_kernarg_preload_length 0
		.amdhsa_user_sgpr_kernarg_preload_offset 0
		.amdhsa_user_sgpr_private_segment_size 0
		.amdhsa_wavefront_size32 1
		.amdhsa_uses_dynamic_stack 0
		.amdhsa_enable_private_segment 0
		.amdhsa_system_sgpr_workgroup_id_x 1
		.amdhsa_system_sgpr_workgroup_id_y 0
		.amdhsa_system_sgpr_workgroup_id_z 0
		.amdhsa_system_sgpr_workgroup_info 0
		.amdhsa_system_vgpr_workitem_id 0
		.amdhsa_next_free_vgpr 17
		.amdhsa_next_free_sgpr 16
		.amdhsa_named_barrier_count 0
		.amdhsa_reserve_vcc 1
		.amdhsa_float_round_mode_32 0
		.amdhsa_float_round_mode_16_64 0
		.amdhsa_float_denorm_mode_32 3
		.amdhsa_float_denorm_mode_16_64 3
		.amdhsa_fp16_overflow 0
		.amdhsa_memory_ordered 1
		.amdhsa_forward_progress 1
		.amdhsa_inst_pref_size 12
		.amdhsa_round_robin_scheduling 0
		.amdhsa_exception_fp_ieee_invalid_op 0
		.amdhsa_exception_fp_denorm_src 0
		.amdhsa_exception_fp_ieee_div_zero 0
		.amdhsa_exception_fp_ieee_overflow 0
		.amdhsa_exception_fp_ieee_underflow 0
		.amdhsa_exception_fp_ieee_inexact 0
		.amdhsa_exception_int_div_zero 0
	.end_amdhsa_kernel
	.section	.text._Z32dynamic_scaled_int8_quant_kernelIffEvPKT_PaPT0_i,"axG",@progbits,_Z32dynamic_scaled_int8_quant_kernelIffEvPKT_PaPT0_i,comdat
.Lfunc_end10:
	.size	_Z32dynamic_scaled_int8_quant_kernelIffEvPKT_PaPT0_i, .Lfunc_end10-_Z32dynamic_scaled_int8_quant_kernelIffEvPKT_PaPT0_i
                                        ; -- End function
	.set _Z32dynamic_scaled_int8_quant_kernelIffEvPKT_PaPT0_i.num_vgpr, 17
	.set _Z32dynamic_scaled_int8_quant_kernelIffEvPKT_PaPT0_i.num_agpr, 0
	.set _Z32dynamic_scaled_int8_quant_kernelIffEvPKT_PaPT0_i.numbered_sgpr, 16
	.set _Z32dynamic_scaled_int8_quant_kernelIffEvPKT_PaPT0_i.num_named_barrier, 0
	.set _Z32dynamic_scaled_int8_quant_kernelIffEvPKT_PaPT0_i.private_seg_size, 0
	.set _Z32dynamic_scaled_int8_quant_kernelIffEvPKT_PaPT0_i.uses_vcc, 1
	.set _Z32dynamic_scaled_int8_quant_kernelIffEvPKT_PaPT0_i.uses_flat_scratch, 0
	.set _Z32dynamic_scaled_int8_quant_kernelIffEvPKT_PaPT0_i.has_dyn_sized_stack, 0
	.set _Z32dynamic_scaled_int8_quant_kernelIffEvPKT_PaPT0_i.has_recursion, 0
	.set _Z32dynamic_scaled_int8_quant_kernelIffEvPKT_PaPT0_i.has_indirect_call, 0
	.section	.AMDGPU.csdata,"",@progbits
; Kernel info:
; codeLenInByte = 1428
; TotalNumSgprs: 18
; NumVgprs: 17
; ScratchSize: 0
; MemoryBound: 0
; FloatMode: 240
; IeeeMode: 1
; LDSByteSize: 132 bytes/workgroup (compile time only)
; SGPRBlocks: 0
; VGPRBlocks: 1
; NumSGPRsForWavesPerEU: 18
; NumVGPRsForWavesPerEU: 17
; NamedBarCnt: 0
; Occupancy: 16
; WaveLimiterHint : 0
; COMPUTE_PGM_RSRC2:SCRATCH_EN: 0
; COMPUTE_PGM_RSRC2:USER_SGPR: 2
; COMPUTE_PGM_RSRC2:TRAP_HANDLER: 0
; COMPUTE_PGM_RSRC2:TGID_X_EN: 1
; COMPUTE_PGM_RSRC2:TGID_Y_EN: 0
; COMPUTE_PGM_RSRC2:TGID_Z_EN: 0
; COMPUTE_PGM_RSRC2:TIDIG_COMP_CNT: 0
	.section	.text._Z36dynamic_scaled_int8_azp_quant_kernelIffiEvPKT_PaPT0_PT1_i,"axG",@progbits,_Z36dynamic_scaled_int8_azp_quant_kernelIffiEvPKT_PaPT0_PT1_i,comdat
	.protected	_Z36dynamic_scaled_int8_azp_quant_kernelIffiEvPKT_PaPT0_PT1_i ; -- Begin function _Z36dynamic_scaled_int8_azp_quant_kernelIffiEvPKT_PaPT0_PT1_i
	.globl	_Z36dynamic_scaled_int8_azp_quant_kernelIffiEvPKT_PaPT0_PT1_i
	.p2align	8
	.type	_Z36dynamic_scaled_int8_azp_quant_kernelIffiEvPKT_PaPT0_PT1_i,@function
_Z36dynamic_scaled_int8_azp_quant_kernelIffiEvPKT_PaPT0_PT1_i: ; @_Z36dynamic_scaled_int8_azp_quant_kernelIffiEvPKT_PaPT0_PT1_i
; %bb.0:
	s_clause 0x1
	s_load_b32 s12, s[0:1], 0x20
	s_load_b64 s[4:5], s[0:1], 0x0
	s_bfe_u32 s2, ttmp6, 0x4000c
	s_and_b32 s3, ttmp6, 15
	s_add_co_i32 s2, s2, 1
	s_getreg_b32 s6, hwreg(HW_REG_IB_STS2, 6, 4)
	s_mul_i32 s2, ttmp9, s2
	s_mov_b32 s19, 0
	s_add_co_i32 s3, s3, s2
	s_cmp_eq_u32 s6, 0
	s_add_nc_u64 s[6:7], s[0:1], 40
	s_cselect_b32 s18, ttmp9, s3
	s_mov_b32 s10, exec_lo
                                        ; implicit-def: $sgpr3
	s_wait_kmcnt 0x0
	s_ashr_i32 s13, s12, 31
	v_cmp_gt_i32_e64 s2, s12, v0
	s_mul_u64 s[16:17], s[12:13], s[18:19]
	s_delay_alu instid0(SALU_CYCLE_1)
	s_lshl_b64 s[8:9], s[16:17], 2
	v_cmpx_le_i32_e64 s12, v0
	s_xor_b32 s10, exec_lo, s10
	s_cbranch_execz .LBB11_2
; %bb.1:
	s_load_b32 s3, s[6:7], 0xc
	s_wait_kmcnt 0x0
	s_and_b32 s3, s3, 0xffff
.LBB11_2:
	s_or_saveexec_b32 s10, s10
	v_dual_mov_b32 v1, 0x7f7fffff :: v_dual_mov_b32 v4, s3
	v_mov_b32_e32 v13, 0x800000
	s_add_nc_u64 s[14:15], s[4:5], s[8:9]
	s_xor_b32 exec_lo, exec_lo, s10
	s_cbranch_execz .LBB11_6
; %bb.3:
	s_load_b32 s3, s[6:7], 0xc
	v_dual_mov_b32 v1, 0x7f7fffff :: v_dual_mov_b32 v2, v0
	v_mov_b32_e32 v13, 0x800000
	s_mov_b32 s5, 0
	s_wait_kmcnt 0x0
	s_and_b32 s4, s3, 0xffff
.LBB11_4:                               ; =>This Inner Loop Header: Depth=1
	global_load_b32 v3, v2, s[14:15] scale_offset
	s_wait_loadcnt 0x0
	v_cmp_lt_f32_e64 s3, v13, v3
	s_delay_alu instid0(VALU_DEP_1) | instskip(SKIP_1) | instid1(VALU_DEP_2)
	v_dual_add_nc_u32 v2, s4, v2 :: v_dual_cndmask_b32 v13, v13, v3, s3
	v_cmp_lt_f32_e64 s3, v3, v1
	v_cmp_le_i32_e32 vcc_lo, s12, v2
	s_delay_alu instid0(VALU_DEP_2) | instskip(SKIP_1) | instid1(SALU_CYCLE_1)
	v_cndmask_b32_e64 v1, v1, v3, s3
	s_or_b32 s5, vcc_lo, s5
	s_and_not1_b32 exec_lo, exec_lo, s5
	s_cbranch_execnz .LBB11_4
; %bb.5:
	s_or_b32 exec_lo, exec_lo, s5
	v_mov_b32_e32 v4, s4
.LBB11_6:
	s_or_b32 exec_lo, exec_lo, s10
	v_mbcnt_lo_u32_b32 v14, -1, 0
	s_load_b64 s[20:21], s[0:1], 0x8
	s_delay_alu instid0(VALU_DEP_1) | instskip(SKIP_4) | instid1(VALU_DEP_4)
	v_cmp_ne_u32_e32 vcc_lo, 31, v14
	v_cmp_gt_u32_e64 s3, 28, v14
	v_cmp_gt_u32_e64 s4, 24, v14
	v_add_co_ci_u32_e64 v2, null, 0, v14, vcc_lo
	v_cmp_gt_u32_e32 vcc_lo, 30, v14
	v_cndmask_b32_e64 v9, 0, 4, s3
	s_delay_alu instid0(VALU_DEP_4) | instskip(NEXT) | instid1(VALU_DEP_4)
	v_cndmask_b32_e64 v11, 0, 8, s4
	v_lshlrev_b32_e32 v3, 2, v2
	v_and_b32_e32 v2, 0x3e0, v0
	v_cndmask_b32_e64 v6, 0, 2, vcc_lo
	ds_bpermute_b32 v5, v3, v13
	v_sub_nc_u32_e64 v15, v4, v2 clamp
	v_add_lshl_u32 v6, v6, v14, 2
	s_wait_dscnt 0x0
	v_cmp_lt_f32_e32 vcc_lo, v13, v5
	v_dual_cndmask_b32 v5, v13, v5 :: v_dual_add_nc_u32 v2, 1, v14
	s_delay_alu instid0(VALU_DEP_1) | instskip(NEXT) | instid1(VALU_DEP_2)
	v_cmp_lt_u32_e32 vcc_lo, v2, v15
	v_cndmask_b32_e32 v7, v13, v5, vcc_lo
	ds_bpermute_b32 v8, v6, v7
	s_wait_dscnt 0x0
	v_cmp_lt_f32_e64 s3, v7, v8
	s_delay_alu instid0(VALU_DEP_1) | instskip(NEXT) | instid1(VALU_DEP_1)
	v_dual_add_nc_u32 v5, 2, v14 :: v_dual_cndmask_b32 v10, v7, v8, s3
	v_cmp_lt_u32_e64 s3, v5, v15
	v_add_lshl_u32 v8, v9, v14, 2
	s_delay_alu instid0(VALU_DEP_2) | instskip(SKIP_3) | instid1(VALU_DEP_1)
	v_cndmask_b32_e64 v9, v7, v10, s3
	ds_bpermute_b32 v10, v8, v9
	s_wait_dscnt 0x0
	v_cmp_lt_f32_e64 s4, v9, v10
	v_cndmask_b32_e64 v12, v9, v10, s4
	v_add_nc_u32_e32 v7, 4, v14
	v_add_lshl_u32 v10, v11, v14, 2
	s_delay_alu instid0(VALU_DEP_2) | instskip(NEXT) | instid1(VALU_DEP_1)
	v_cmp_lt_u32_e64 s4, v7, v15
	v_cndmask_b32_e64 v12, v9, v12, s4
	ds_bpermute_b32 v11, v10, v12
	s_wait_dscnt 0x0
	v_cmp_lt_f32_e64 s5, v12, v11
	s_delay_alu instid0(VALU_DEP_1) | instskip(SKIP_1) | instid1(VALU_DEP_2)
	v_dual_cndmask_b32 v16, v12, v11, s5 :: v_dual_add_nc_u32 v9, 8, v14
	v_lshl_or_b32 v11, v14, 2, 64
	v_cmp_lt_u32_e64 s6, v9, v15
	s_delay_alu instid0(VALU_DEP_1)
	v_dual_cndmask_b32 v16, v12, v16, s6 :: v_dual_add_nc_u32 v12, 16, v14
	ds_bpermute_b32 v17, v11, v16
	v_cmp_lt_u32_e64 s8, v12, v15
	s_wait_dscnt 0x0
	v_cmp_lt_f32_e64 s5, v16, v17
	s_and_b32 s5, s8, s5
	s_delay_alu instid0(SALU_CYCLE_1) | instskip(SKIP_1) | instid1(VALU_DEP_2)
	v_cndmask_b32_e64 v15, v16, v17, s5
	v_cmp_eq_u32_e64 s5, 0, v14
	v_dual_cndmask_b32 v13, v13, v15, vcc_lo :: v_dual_lshrrev_b32 v15, 3, v0
	s_and_saveexec_b32 s7, s5
; %bb.7:
	s_delay_alu instid0(VALU_DEP_1)
	v_and_b32_e32 v16, 0x7c, v15
	ds_store_b32 v16, v13
; %bb.8:
	s_or_b32 exec_lo, exec_lo, s7
	v_cmp_gt_u32_e64 s7, 32, v0
	v_dual_lshlrev_b32 v16, 2, v14 :: v_dual_add_nc_u32 v14, 31, v4
	s_wait_dscnt 0x0
	s_barrier_signal -1
	s_barrier_wait -1
	s_and_saveexec_b32 s13, s7
	s_cbranch_execz .LBB11_10
; %bb.9:
	ds_load_b32 v13, v16
	s_wait_dscnt 0x0
	ds_bpermute_b32 v17, v3, v13
	s_wait_dscnt 0x0
	v_cmp_lt_f32_e64 s9, v13, v17
	s_delay_alu instid0(VALU_DEP_1) | instskip(NEXT) | instid1(VALU_DEP_1)
	v_dual_lshrrev_b32 v18, 5, v14 :: v_dual_cndmask_b32 v17, v13, v17, s9
	v_cmp_lt_u32_e64 s9, v2, v18
	s_delay_alu instid0(VALU_DEP_1) | instskip(SKIP_3) | instid1(VALU_DEP_1)
	v_cndmask_b32_e64 v17, v13, v17, s9
	ds_bpermute_b32 v19, v6, v17
	s_wait_dscnt 0x0
	v_cmp_lt_f32_e64 s10, v17, v19
	v_cndmask_b32_e64 v19, v17, v19, s10
	v_cmp_lt_u32_e64 s10, v5, v18
	s_delay_alu instid0(VALU_DEP_1) | instskip(SKIP_3) | instid1(VALU_DEP_1)
	v_cndmask_b32_e64 v17, v17, v19, s10
	ds_bpermute_b32 v19, v8, v17
	s_wait_dscnt 0x0
	v_cmp_lt_f32_e64 s10, v17, v19
	v_cndmask_b32_e64 v19, v17, v19, s10
	;; [unrolled: 7-line block ×3, first 2 shown]
	v_cmp_lt_u32_e64 s10, v9, v18
	s_delay_alu instid0(VALU_DEP_1)
	v_cndmask_b32_e64 v17, v17, v19, s10
	v_cmp_lt_u32_e64 s10, v12, v18
	ds_bpermute_b32 v19, v11, v17
	s_wait_dscnt 0x0
	v_cmp_lt_f32_e64 s11, v17, v19
	s_and_b32 s10, s10, s11
	s_delay_alu instid0(SALU_CYCLE_1) | instskip(NEXT) | instid1(VALU_DEP_1)
	v_cndmask_b32_e64 v17, v17, v19, s10
	v_cndmask_b32_e64 v13, v13, v17, s9
.LBB11_10:
	s_or_b32 exec_lo, exec_lo, s13
	ds_bpermute_b32 v17, v3, v1
	s_wait_dscnt 0x0
	s_barrier_signal -1
	s_barrier_wait -1
	v_cmp_gt_f32_e64 s9, v1, v17
	s_delay_alu instid0(VALU_DEP_1) | instskip(NEXT) | instid1(VALU_DEP_1)
	v_cndmask_b32_e64 v17, v1, v17, s9
	v_cndmask_b32_e32 v17, v1, v17, vcc_lo
	ds_bpermute_b32 v18, v6, v17
	s_wait_dscnt 0x0
	v_cmp_gt_f32_e64 s9, v17, v18
	s_delay_alu instid0(VALU_DEP_1) | instskip(NEXT) | instid1(VALU_DEP_1)
	v_cndmask_b32_e64 v18, v17, v18, s9
	v_cndmask_b32_e64 v17, v17, v18, s3
	ds_bpermute_b32 v18, v8, v17
	s_wait_dscnt 0x0
	v_cmp_gt_f32_e64 s3, v17, v18
	s_delay_alu instid0(VALU_DEP_1) | instskip(NEXT) | instid1(VALU_DEP_1)
	v_cndmask_b32_e64 v18, v17, v18, s3
	v_cndmask_b32_e64 v17, v17, v18, s4
	;; [unrolled: 6-line block ×3, first 2 shown]
	ds_bpermute_b32 v18, v11, v17
	s_wait_dscnt 0x0
	v_cmp_gt_f32_e64 s3, v17, v18
	s_and_b32 s3, s8, s3
	s_delay_alu instid0(SALU_CYCLE_1) | instskip(NEXT) | instid1(VALU_DEP_1)
	v_cndmask_b32_e64 v17, v17, v18, s3
	v_cndmask_b32_e32 v1, v1, v17, vcc_lo
	s_and_saveexec_b32 s3, s5
; %bb.11:
	v_and_b32_e32 v15, 0x7c, v15
	ds_store_b32 v15, v1
; %bb.12:
	s_or_b32 exec_lo, exec_lo, s3
	s_wait_dscnt 0x0
	s_barrier_signal -1
	s_barrier_wait -1
	s_and_saveexec_b32 s5, s7
	s_cbranch_execz .LBB11_14
; %bb.13:
	ds_load_b32 v1, v16
	s_wait_dscnt 0x0
	ds_bpermute_b32 v3, v3, v1
	s_wait_dscnt 0x0
	v_cmp_gt_f32_e32 vcc_lo, v1, v3
	v_dual_cndmask_b32 v3, v1, v3 :: v_dual_lshrrev_b32 v14, 5, v14
	s_delay_alu instid0(VALU_DEP_1) | instskip(NEXT) | instid1(VALU_DEP_2)
	v_cmp_lt_u32_e32 vcc_lo, v2, v14
	v_cndmask_b32_e32 v2, v1, v3, vcc_lo
	ds_bpermute_b32 v3, v6, v2
	s_wait_dscnt 0x0
	v_cmp_gt_f32_e64 s3, v2, v3
	s_delay_alu instid0(VALU_DEP_1) | instskip(SKIP_1) | instid1(VALU_DEP_1)
	v_cndmask_b32_e64 v3, v2, v3, s3
	v_cmp_lt_u32_e64 s3, v5, v14
	v_cndmask_b32_e64 v2, v2, v3, s3
	ds_bpermute_b32 v3, v8, v2
	s_wait_dscnt 0x0
	v_cmp_gt_f32_e64 s3, v2, v3
	s_delay_alu instid0(VALU_DEP_1) | instskip(SKIP_1) | instid1(VALU_DEP_1)
	v_cndmask_b32_e64 v3, v2, v3, s3
	v_cmp_lt_u32_e64 s3, v7, v14
	v_cndmask_b32_e64 v2, v2, v3, s3
	;; [unrolled: 7-line block ×3, first 2 shown]
	v_cmp_lt_u32_e64 s3, v12, v14
	ds_bpermute_b32 v3, v11, v2
	s_wait_dscnt 0x0
	v_cmp_gt_f32_e64 s4, v2, v3
	s_and_b32 s3, s3, s4
	s_delay_alu instid0(SALU_CYCLE_1) | instskip(NEXT) | instid1(VALU_DEP_1)
	v_cndmask_b32_e64 v2, v2, v3, s3
	v_cndmask_b32_e32 v1, v1, v2, vcc_lo
.LBB11_14:
	s_or_b32 exec_lo, exec_lo, s5
	s_delay_alu instid0(SALU_CYCLE_1)
	s_mov_b32 s3, exec_lo
	v_cmpx_eq_u32_e32 0, v0
	s_cbranch_execz .LBB11_16
; %bb.15:
	v_sub_f32_e32 v2, v13, v1
	s_load_b128 s[4:7], s[0:1], 0x10
	s_wait_xcnt 0x0
	s_lshl_b64 s[0:1], s[18:19], 2
	s_delay_alu instid0(VALU_DEP_1) | instskip(SKIP_1) | instid1(VALU_DEP_2)
	v_div_scale_f32 v3, null, 0x437f0000, 0x437f0000, v2
	v_div_scale_f32 v7, vcc_lo, v2, 0x437f0000, v2
	v_rcp_f32_e32 v5, v3
	v_nop
	s_delay_alu instid0(TRANS32_DEP_1) | instskip(SKIP_2) | instid1(VALU_DEP_1)
	v_fma_f32 v6, -v3, v5, 1.0
	s_wait_kmcnt 0x0
	s_add_nc_u64 s[4:5], s[4:5], s[0:1]
	v_fmac_f32_e32 v5, v6, v5
	s_add_nc_u64 s[0:1], s[6:7], s[0:1]
	s_delay_alu instid0(VALU_DEP_1) | instskip(NEXT) | instid1(VALU_DEP_1)
	v_mul_f32_e32 v6, v7, v5
	v_fma_f32 v8, -v3, v6, v7
	s_delay_alu instid0(VALU_DEP_1) | instskip(NEXT) | instid1(VALU_DEP_1)
	v_fmac_f32_e32 v6, v8, v5
	v_fma_f32 v3, -v3, v6, v7
	s_delay_alu instid0(VALU_DEP_1) | instskip(NEXT) | instid1(VALU_DEP_1)
	v_div_fmas_f32 v3, v3, v5, v6
	v_div_fixup_f32 v3, v3, 0x437f0000, v2
	s_delay_alu instid0(VALU_DEP_1) | instskip(SKIP_1) | instid1(VALU_DEP_2)
	v_div_scale_f32 v2, null, v3, v3, v1
	v_div_scale_f32 v7, vcc_lo, v1, v3, v1
	v_rcp_f32_e32 v5, v2
	v_nop
	s_delay_alu instid0(TRANS32_DEP_1) | instskip(NEXT) | instid1(VALU_DEP_1)
	v_fma_f32 v6, -v2, v5, 1.0
	v_fmac_f32_e32 v5, v6, v5
	s_delay_alu instid0(VALU_DEP_1) | instskip(NEXT) | instid1(VALU_DEP_1)
	v_mul_f32_e32 v6, v7, v5
	v_fma_f32 v8, -v2, v6, v7
	s_delay_alu instid0(VALU_DEP_1) | instskip(NEXT) | instid1(VALU_DEP_1)
	v_fmac_f32_e32 v6, v8, v5
	v_fma_f32 v2, -v2, v6, v7
	s_delay_alu instid0(VALU_DEP_1) | instskip(SKIP_1) | instid1(VALU_DEP_2)
	v_div_fmas_f32 v2, v2, v5, v6
	v_mov_b32_e32 v5, 0
	v_div_fixup_f32 v1, v2, v3, v1
	s_delay_alu instid0(VALU_DEP_1) | instskip(NEXT) | instid1(VALU_DEP_1)
	v_sub_f32_e32 v1, 0xc3000000, v1
	v_rndne_f32_e32 v1, v1
	s_delay_alu instid0(VALU_DEP_1)
	v_cvt_i32_f32_e32 v2, v1
	ds_store_b64 v5, v[2:3] offset:128
	s_clause 0x1
	global_store_b32 v5, v3, s[4:5]
	global_store_b32 v5, v2, s[0:1]
.LBB11_16:
	s_wait_xcnt 0x0
	s_or_b32 exec_lo, exec_lo, s3
	s_wait_storecnt_dscnt 0x0
	s_barrier_signal -1
	s_barrier_wait -1
	s_and_saveexec_b32 s0, s2
	s_cbranch_execz .LBB11_23
; %bb.17:
	v_mov_b32_e32 v1, 0
	s_wait_kmcnt 0x0
	s_add_nc_u64 s[0:1], s[20:21], s[16:17]
	s_mov_b32 s2, 0
	s_movk_i32 s3, 0xff80
	ds_load_b64 v[2:3], v1 offset:128
	s_branch .LBB11_20
.LBB11_18:                              ;   in Loop: Header=BB11_20 Depth=1
	s_or_b32 exec_lo, exec_lo, s5
.LBB11_19:                              ;   in Loop: Header=BB11_20 Depth=1
	s_delay_alu instid0(SALU_CYCLE_1) | instskip(SKIP_1) | instid1(VALU_DEP_1)
	s_or_b32 exec_lo, exec_lo, s4
	v_ashrrev_i32_e32 v1, 31, v0
	v_add_nc_u64_e32 v[6:7], s[0:1], v[0:1]
	v_dual_add_nc_u32 v0, v0, v4 :: v_dual_add_nc_u32 v1, v5, v2
	s_delay_alu instid0(VALU_DEP_1) | instskip(NEXT) | instid1(VALU_DEP_2)
	v_cmp_le_i32_e32 vcc_lo, s12, v0
	v_med3_i32 v1, v1, s3, 0x7f
	s_or_b32 s2, vcc_lo, s2
	global_store_b8 v[6:7], v1, off
	s_wait_xcnt 0x0
	s_and_not1_b32 exec_lo, exec_lo, s2
	s_cbranch_execz .LBB11_23
.LBB11_20:                              ; =>This Inner Loop Header: Depth=1
	global_load_b32 v1, v0, s[14:15] scale_offset
	s_mov_b32 s4, exec_lo
	s_wait_loadcnt_dscnt 0x0
	v_div_scale_f32 v5, null, v3, v3, v1
	v_div_scale_f32 v8, vcc_lo, v1, v3, v1
	s_delay_alu instid0(VALU_DEP_2) | instskip(SKIP_1) | instid1(TRANS32_DEP_1)
	v_rcp_f32_e32 v6, v5
	v_nop
	v_fma_f32 v7, -v5, v6, 1.0
	s_delay_alu instid0(VALU_DEP_1) | instskip(NEXT) | instid1(VALU_DEP_1)
	v_fmac_f32_e32 v6, v7, v6
	v_mul_f32_e32 v7, v8, v6
	s_delay_alu instid0(VALU_DEP_1) | instskip(NEXT) | instid1(VALU_DEP_1)
	v_fma_f32 v9, -v5, v7, v8
	v_fmac_f32_e32 v7, v9, v6
	s_delay_alu instid0(VALU_DEP_1) | instskip(NEXT) | instid1(VALU_DEP_1)
	v_fma_f32 v5, -v5, v7, v8
	v_div_fmas_f32 v5, v5, v6, v7
	s_delay_alu instid0(VALU_DEP_1) | instskip(SKIP_1) | instid1(VALU_DEP_2)
	v_div_fixup_f32 v1, v5, v3, v1
	v_bfrev_b32_e32 v5, -2
	v_rndne_f32_e32 v1, v1
	s_wait_xcnt 0x0
	s_delay_alu instid0(VALU_DEP_1)
	v_cmpx_nle_f32_e32 0x4f000000, v1
	s_cbranch_execz .LBB11_19
; %bb.21:                               ;   in Loop: Header=BB11_20 Depth=1
	v_bfrev_b32_e32 v5, 1
	s_mov_b32 s5, exec_lo
	v_cmpx_nge_f32_e32 0xcf000000, v1
	s_cbranch_execz .LBB11_18
; %bb.22:                               ;   in Loop: Header=BB11_20 Depth=1
	v_cvt_i32_f32_e32 v5, v1
	s_branch .LBB11_18
.LBB11_23:
	s_endpgm
	.section	.rodata,"a",@progbits
	.p2align	6, 0x0
	.amdhsa_kernel _Z36dynamic_scaled_int8_azp_quant_kernelIffiEvPKT_PaPT0_PT1_i
		.amdhsa_group_segment_fixed_size 136
		.amdhsa_private_segment_fixed_size 0
		.amdhsa_kernarg_size 296
		.amdhsa_user_sgpr_count 2
		.amdhsa_user_sgpr_dispatch_ptr 0
		.amdhsa_user_sgpr_queue_ptr 0
		.amdhsa_user_sgpr_kernarg_segment_ptr 1
		.amdhsa_user_sgpr_dispatch_id 0
		.amdhsa_user_sgpr_kernarg_preload_length 0
		.amdhsa_user_sgpr_kernarg_preload_offset 0
		.amdhsa_user_sgpr_private_segment_size 0
		.amdhsa_wavefront_size32 1
		.amdhsa_uses_dynamic_stack 0
		.amdhsa_enable_private_segment 0
		.amdhsa_system_sgpr_workgroup_id_x 1
		.amdhsa_system_sgpr_workgroup_id_y 0
		.amdhsa_system_sgpr_workgroup_id_z 0
		.amdhsa_system_sgpr_workgroup_info 0
		.amdhsa_system_vgpr_workitem_id 0
		.amdhsa_next_free_vgpr 20
		.amdhsa_next_free_sgpr 22
		.amdhsa_named_barrier_count 0
		.amdhsa_reserve_vcc 1
		.amdhsa_float_round_mode_32 0
		.amdhsa_float_round_mode_16_64 0
		.amdhsa_float_denorm_mode_32 3
		.amdhsa_float_denorm_mode_16_64 3
		.amdhsa_fp16_overflow 0
		.amdhsa_memory_ordered 1
		.amdhsa_forward_progress 1
		.amdhsa_inst_pref_size 17
		.amdhsa_round_robin_scheduling 0
		.amdhsa_exception_fp_ieee_invalid_op 0
		.amdhsa_exception_fp_denorm_src 0
		.amdhsa_exception_fp_ieee_div_zero 0
		.amdhsa_exception_fp_ieee_overflow 0
		.amdhsa_exception_fp_ieee_underflow 0
		.amdhsa_exception_fp_ieee_inexact 0
		.amdhsa_exception_int_div_zero 0
	.end_amdhsa_kernel
	.section	.text._Z36dynamic_scaled_int8_azp_quant_kernelIffiEvPKT_PaPT0_PT1_i,"axG",@progbits,_Z36dynamic_scaled_int8_azp_quant_kernelIffiEvPKT_PaPT0_PT1_i,comdat
.Lfunc_end11:
	.size	_Z36dynamic_scaled_int8_azp_quant_kernelIffiEvPKT_PaPT0_PT1_i, .Lfunc_end11-_Z36dynamic_scaled_int8_azp_quant_kernelIffiEvPKT_PaPT0_PT1_i
                                        ; -- End function
	.set _Z36dynamic_scaled_int8_azp_quant_kernelIffiEvPKT_PaPT0_PT1_i.num_vgpr, 20
	.set _Z36dynamic_scaled_int8_azp_quant_kernelIffiEvPKT_PaPT0_PT1_i.num_agpr, 0
	.set _Z36dynamic_scaled_int8_azp_quant_kernelIffiEvPKT_PaPT0_PT1_i.numbered_sgpr, 22
	.set _Z36dynamic_scaled_int8_azp_quant_kernelIffiEvPKT_PaPT0_PT1_i.num_named_barrier, 0
	.set _Z36dynamic_scaled_int8_azp_quant_kernelIffiEvPKT_PaPT0_PT1_i.private_seg_size, 0
	.set _Z36dynamic_scaled_int8_azp_quant_kernelIffiEvPKT_PaPT0_PT1_i.uses_vcc, 1
	.set _Z36dynamic_scaled_int8_azp_quant_kernelIffiEvPKT_PaPT0_PT1_i.uses_flat_scratch, 0
	.set _Z36dynamic_scaled_int8_azp_quant_kernelIffiEvPKT_PaPT0_PT1_i.has_dyn_sized_stack, 0
	.set _Z36dynamic_scaled_int8_azp_quant_kernelIffiEvPKT_PaPT0_PT1_i.has_recursion, 0
	.set _Z36dynamic_scaled_int8_azp_quant_kernelIffiEvPKT_PaPT0_PT1_i.has_indirect_call, 0
	.section	.AMDGPU.csdata,"",@progbits
; Kernel info:
; codeLenInByte = 2160
; TotalNumSgprs: 24
; NumVgprs: 20
; ScratchSize: 0
; MemoryBound: 0
; FloatMode: 240
; IeeeMode: 1
; LDSByteSize: 136 bytes/workgroup (compile time only)
; SGPRBlocks: 0
; VGPRBlocks: 1
; NumSGPRsForWavesPerEU: 24
; NumVGPRsForWavesPerEU: 20
; NamedBarCnt: 0
; Occupancy: 16
; WaveLimiterHint : 0
; COMPUTE_PGM_RSRC2:SCRATCH_EN: 0
; COMPUTE_PGM_RSRC2:USER_SGPR: 2
; COMPUTE_PGM_RSRC2:TRAP_HANDLER: 0
; COMPUTE_PGM_RSRC2:TGID_X_EN: 1
; COMPUTE_PGM_RSRC2:TGID_Y_EN: 0
; COMPUTE_PGM_RSRC2:TGID_Z_EN: 0
; COMPUTE_PGM_RSRC2:TIDIG_COMP_CNT: 0
	.section	.AMDGPU.gpr_maximums,"",@progbits
	.set amdgpu.max_num_vgpr, 0
	.set amdgpu.max_num_agpr, 0
	.set amdgpu.max_num_sgpr, 0
	.section	.AMDGPU.csdata,"",@progbits
	.type	__hip_cuid_9b1b7e7bcd8efc2f,@object ; @__hip_cuid_9b1b7e7bcd8efc2f
	.section	.bss,"aw",@nobits
	.globl	__hip_cuid_9b1b7e7bcd8efc2f
__hip_cuid_9b1b7e7bcd8efc2f:
	.byte	0                               ; 0x0
	.size	__hip_cuid_9b1b7e7bcd8efc2f, 1

	.ident	"AMD clang version 22.0.0git (https://github.com/RadeonOpenCompute/llvm-project roc-7.2.4 26084 f58b06dce1f9c15707c5f808fd002e18c2accf7e)"
	.section	".note.GNU-stack","",@progbits
	.addrsig
	.addrsig_sym __hip_cuid_9b1b7e7bcd8efc2f
	.amdgpu_metadata
---
amdhsa.kernels:
  - .args:
      - .actual_access:  read_only
        .address_space:  global
        .offset:         0
        .size:           8
        .value_kind:     global_buffer
      - .actual_access:  write_only
        .address_space:  global
        .offset:         8
        .size:           8
        .value_kind:     global_buffer
      - .offset:         16
        .size:           4
        .value_kind:     by_value
      - .offset:         20
        .size:           4
        .value_kind:     by_value
      - .offset:         24
        .size:           4
        .value_kind:     hidden_block_count_x
      - .offset:         28
        .size:           4
        .value_kind:     hidden_block_count_y
      - .offset:         32
        .size:           4
        .value_kind:     hidden_block_count_z
      - .offset:         36
        .size:           2
        .value_kind:     hidden_group_size_x
      - .offset:         38
        .size:           2
        .value_kind:     hidden_group_size_y
      - .offset:         40
        .size:           2
        .value_kind:     hidden_group_size_z
      - .offset:         42
        .size:           2
        .value_kind:     hidden_remainder_x
      - .offset:         44
        .size:           2
        .value_kind:     hidden_remainder_y
      - .offset:         46
        .size:           2
        .value_kind:     hidden_remainder_z
      - .offset:         64
        .size:           8
        .value_kind:     hidden_global_offset_x
      - .offset:         72
        .size:           8
        .value_kind:     hidden_global_offset_y
      - .offset:         80
        .size:           8
        .value_kind:     hidden_global_offset_z
      - .offset:         88
        .size:           2
        .value_kind:     hidden_grid_dims
    .group_segment_fixed_size: 0
    .kernarg_segment_align: 8
    .kernarg_segment_size: 280
    .language:       OpenCL C
    .language_version:
      - 2
      - 0
    .max_flat_workgroup_size: 1024
    .name:           _Z31static_scaled_int8_quant_kernelI6__halffEvPKT_PaT0_i
    .private_segment_fixed_size: 0
    .sgpr_count:     15
    .sgpr_spill_count: 0
    .symbol:         _Z31static_scaled_int8_quant_kernelI6__halffEvPKT_PaT0_i.kd
    .uniform_work_group_size: 1
    .uses_dynamic_stack: false
    .vgpr_count:     7
    .vgpr_spill_count: 0
    .wavefront_size: 32
  - .args:
      - .actual_access:  read_only
        .address_space:  global
        .offset:         0
        .size:           8
        .value_kind:     global_buffer
      - .actual_access:  write_only
        .address_space:  global
        .offset:         8
        .size:           8
        .value_kind:     global_buffer
      - .offset:         16
        .size:           4
        .value_kind:     by_value
      - .offset:         20
        .size:           4
        .value_kind:     by_value
      - .offset:         24
        .size:           4
        .value_kind:     by_value
      - .offset:         32
        .size:           4
        .value_kind:     hidden_block_count_x
      - .offset:         36
        .size:           4
        .value_kind:     hidden_block_count_y
      - .offset:         40
        .size:           4
        .value_kind:     hidden_block_count_z
      - .offset:         44
        .size:           2
        .value_kind:     hidden_group_size_x
      - .offset:         46
        .size:           2
        .value_kind:     hidden_group_size_y
      - .offset:         48
        .size:           2
        .value_kind:     hidden_group_size_z
      - .offset:         50
        .size:           2
        .value_kind:     hidden_remainder_x
      - .offset:         52
        .size:           2
        .value_kind:     hidden_remainder_y
      - .offset:         54
        .size:           2
        .value_kind:     hidden_remainder_z
      - .offset:         72
        .size:           8
        .value_kind:     hidden_global_offset_x
      - .offset:         80
        .size:           8
        .value_kind:     hidden_global_offset_y
      - .offset:         88
        .size:           8
        .value_kind:     hidden_global_offset_z
      - .offset:         96
        .size:           2
        .value_kind:     hidden_grid_dims
    .group_segment_fixed_size: 0
    .kernarg_segment_align: 8
    .kernarg_segment_size: 288
    .language:       OpenCL C
    .language_version:
      - 2
      - 0
    .max_flat_workgroup_size: 1024
    .name:           _Z35static_scaled_int8_azp_quant_kernelI6__halffiEvPKT_PaT0_T1_i
    .private_segment_fixed_size: 0
    .sgpr_count:     16
    .sgpr_spill_count: 0
    .symbol:         _Z35static_scaled_int8_azp_quant_kernelI6__halffiEvPKT_PaT0_T1_i.kd
    .uniform_work_group_size: 1
    .uses_dynamic_stack: false
    .vgpr_count:     7
    .vgpr_spill_count: 0
    .wavefront_size: 32
  - .args:
      - .actual_access:  read_only
        .address_space:  global
        .offset:         0
        .size:           8
        .value_kind:     global_buffer
      - .actual_access:  write_only
        .address_space:  global
        .offset:         8
        .size:           8
        .value_kind:     global_buffer
      - .address_space:  global
        .offset:         16
        .size:           8
        .value_kind:     global_buffer
      - .offset:         24
        .size:           4
        .value_kind:     by_value
      - .offset:         32
        .size:           4
        .value_kind:     hidden_block_count_x
      - .offset:         36
        .size:           4
        .value_kind:     hidden_block_count_y
      - .offset:         40
        .size:           4
        .value_kind:     hidden_block_count_z
      - .offset:         44
        .size:           2
        .value_kind:     hidden_group_size_x
      - .offset:         46
        .size:           2
        .value_kind:     hidden_group_size_y
      - .offset:         48
        .size:           2
        .value_kind:     hidden_group_size_z
      - .offset:         50
        .size:           2
        .value_kind:     hidden_remainder_x
      - .offset:         52
        .size:           2
        .value_kind:     hidden_remainder_y
      - .offset:         54
        .size:           2
        .value_kind:     hidden_remainder_z
      - .offset:         72
        .size:           8
        .value_kind:     hidden_global_offset_x
      - .offset:         80
        .size:           8
        .value_kind:     hidden_global_offset_y
      - .offset:         88
        .size:           8
        .value_kind:     hidden_global_offset_z
      - .offset:         96
        .size:           2
        .value_kind:     hidden_grid_dims
    .group_segment_fixed_size: 132
    .kernarg_segment_align: 8
    .kernarg_segment_size: 288
    .language:       OpenCL C
    .language_version:
      - 2
      - 0
    .max_flat_workgroup_size: 1024
    .name:           _Z32dynamic_scaled_int8_quant_kernelI6__halffEvPKT_PaPT0_i
    .private_segment_fixed_size: 0
    .sgpr_count:     18
    .sgpr_spill_count: 0
    .symbol:         _Z32dynamic_scaled_int8_quant_kernelI6__halffEvPKT_PaPT0_i.kd
    .uniform_work_group_size: 1
    .uses_dynamic_stack: false
    .vgpr_count:     17
    .vgpr_spill_count: 0
    .wavefront_size: 32
  - .args:
      - .actual_access:  read_only
        .address_space:  global
        .offset:         0
        .size:           8
        .value_kind:     global_buffer
      - .actual_access:  write_only
        .address_space:  global
        .offset:         8
        .size:           8
        .value_kind:     global_buffer
      - .address_space:  global
        .offset:         16
        .size:           8
        .value_kind:     global_buffer
      - .address_space:  global
        .offset:         24
        .size:           8
        .value_kind:     global_buffer
      - .offset:         32
        .size:           4
        .value_kind:     by_value
      - .offset:         40
        .size:           4
        .value_kind:     hidden_block_count_x
      - .offset:         44
        .size:           4
        .value_kind:     hidden_block_count_y
      - .offset:         48
        .size:           4
        .value_kind:     hidden_block_count_z
      - .offset:         52
        .size:           2
        .value_kind:     hidden_group_size_x
      - .offset:         54
        .size:           2
        .value_kind:     hidden_group_size_y
      - .offset:         56
        .size:           2
        .value_kind:     hidden_group_size_z
      - .offset:         58
        .size:           2
        .value_kind:     hidden_remainder_x
      - .offset:         60
        .size:           2
        .value_kind:     hidden_remainder_y
      - .offset:         62
        .size:           2
        .value_kind:     hidden_remainder_z
      - .offset:         80
        .size:           8
        .value_kind:     hidden_global_offset_x
      - .offset:         88
        .size:           8
        .value_kind:     hidden_global_offset_y
      - .offset:         96
        .size:           8
        .value_kind:     hidden_global_offset_z
      - .offset:         104
        .size:           2
        .value_kind:     hidden_grid_dims
    .group_segment_fixed_size: 136
    .kernarg_segment_align: 8
    .kernarg_segment_size: 296
    .language:       OpenCL C
    .language_version:
      - 2
      - 0
    .max_flat_workgroup_size: 1024
    .name:           _Z36dynamic_scaled_int8_azp_quant_kernelI6__halffiEvPKT_PaPT0_PT1_i
    .private_segment_fixed_size: 0
    .sgpr_count:     24
    .sgpr_spill_count: 0
    .symbol:         _Z36dynamic_scaled_int8_azp_quant_kernelI6__halffiEvPKT_PaPT0_PT1_i.kd
    .uniform_work_group_size: 1
    .uses_dynamic_stack: false
    .vgpr_count:     20
    .vgpr_spill_count: 0
    .wavefront_size: 32
  - .args:
      - .actual_access:  read_only
        .address_space:  global
        .offset:         0
        .size:           8
        .value_kind:     global_buffer
      - .actual_access:  write_only
        .address_space:  global
        .offset:         8
        .size:           8
        .value_kind:     global_buffer
      - .offset:         16
        .size:           4
        .value_kind:     by_value
      - .offset:         20
        .size:           4
        .value_kind:     by_value
      - .offset:         24
        .size:           4
        .value_kind:     hidden_block_count_x
      - .offset:         28
        .size:           4
        .value_kind:     hidden_block_count_y
      - .offset:         32
        .size:           4
        .value_kind:     hidden_block_count_z
      - .offset:         36
        .size:           2
        .value_kind:     hidden_group_size_x
      - .offset:         38
        .size:           2
        .value_kind:     hidden_group_size_y
      - .offset:         40
        .size:           2
        .value_kind:     hidden_group_size_z
      - .offset:         42
        .size:           2
        .value_kind:     hidden_remainder_x
      - .offset:         44
        .size:           2
        .value_kind:     hidden_remainder_y
      - .offset:         46
        .size:           2
        .value_kind:     hidden_remainder_z
      - .offset:         64
        .size:           8
        .value_kind:     hidden_global_offset_x
      - .offset:         72
        .size:           8
        .value_kind:     hidden_global_offset_y
      - .offset:         80
        .size:           8
        .value_kind:     hidden_global_offset_z
      - .offset:         88
        .size:           2
        .value_kind:     hidden_grid_dims
    .group_segment_fixed_size: 0
    .kernarg_segment_align: 8
    .kernarg_segment_size: 280
    .language:       OpenCL C
    .language_version:
      - 2
      - 0
    .max_flat_workgroup_size: 1024
    .name:           _Z31static_scaled_int8_quant_kernelI12hip_bfloat16fEvPKT_PaT0_i
    .private_segment_fixed_size: 0
    .sgpr_count:     15
    .sgpr_spill_count: 0
    .symbol:         _Z31static_scaled_int8_quant_kernelI12hip_bfloat16fEvPKT_PaT0_i.kd
    .uniform_work_group_size: 1
    .uses_dynamic_stack: false
    .vgpr_count:     7
    .vgpr_spill_count: 0
    .wavefront_size: 32
  - .args:
      - .actual_access:  read_only
        .address_space:  global
        .offset:         0
        .size:           8
        .value_kind:     global_buffer
      - .actual_access:  write_only
        .address_space:  global
        .offset:         8
        .size:           8
        .value_kind:     global_buffer
      - .offset:         16
        .size:           4
        .value_kind:     by_value
      - .offset:         20
        .size:           4
        .value_kind:     by_value
      - .offset:         24
        .size:           4
        .value_kind:     by_value
      - .offset:         32
        .size:           4
        .value_kind:     hidden_block_count_x
      - .offset:         36
        .size:           4
        .value_kind:     hidden_block_count_y
      - .offset:         40
        .size:           4
        .value_kind:     hidden_block_count_z
      - .offset:         44
        .size:           2
        .value_kind:     hidden_group_size_x
      - .offset:         46
        .size:           2
        .value_kind:     hidden_group_size_y
      - .offset:         48
        .size:           2
        .value_kind:     hidden_group_size_z
      - .offset:         50
        .size:           2
        .value_kind:     hidden_remainder_x
      - .offset:         52
        .size:           2
        .value_kind:     hidden_remainder_y
      - .offset:         54
        .size:           2
        .value_kind:     hidden_remainder_z
      - .offset:         72
        .size:           8
        .value_kind:     hidden_global_offset_x
      - .offset:         80
        .size:           8
        .value_kind:     hidden_global_offset_y
      - .offset:         88
        .size:           8
        .value_kind:     hidden_global_offset_z
      - .offset:         96
        .size:           2
        .value_kind:     hidden_grid_dims
    .group_segment_fixed_size: 0
    .kernarg_segment_align: 8
    .kernarg_segment_size: 288
    .language:       OpenCL C
    .language_version:
      - 2
      - 0
    .max_flat_workgroup_size: 1024
    .name:           _Z35static_scaled_int8_azp_quant_kernelI12hip_bfloat16fiEvPKT_PaT0_T1_i
    .private_segment_fixed_size: 0
    .sgpr_count:     16
    .sgpr_spill_count: 0
    .symbol:         _Z35static_scaled_int8_azp_quant_kernelI12hip_bfloat16fiEvPKT_PaT0_T1_i.kd
    .uniform_work_group_size: 1
    .uses_dynamic_stack: false
    .vgpr_count:     7
    .vgpr_spill_count: 0
    .wavefront_size: 32
  - .args:
      - .actual_access:  read_only
        .address_space:  global
        .offset:         0
        .size:           8
        .value_kind:     global_buffer
      - .actual_access:  write_only
        .address_space:  global
        .offset:         8
        .size:           8
        .value_kind:     global_buffer
      - .address_space:  global
        .offset:         16
        .size:           8
        .value_kind:     global_buffer
      - .offset:         24
        .size:           4
        .value_kind:     by_value
      - .offset:         32
        .size:           4
        .value_kind:     hidden_block_count_x
      - .offset:         36
        .size:           4
        .value_kind:     hidden_block_count_y
      - .offset:         40
        .size:           4
        .value_kind:     hidden_block_count_z
      - .offset:         44
        .size:           2
        .value_kind:     hidden_group_size_x
      - .offset:         46
        .size:           2
        .value_kind:     hidden_group_size_y
      - .offset:         48
        .size:           2
        .value_kind:     hidden_group_size_z
      - .offset:         50
        .size:           2
        .value_kind:     hidden_remainder_x
      - .offset:         52
        .size:           2
        .value_kind:     hidden_remainder_y
      - .offset:         54
        .size:           2
        .value_kind:     hidden_remainder_z
      - .offset:         72
        .size:           8
        .value_kind:     hidden_global_offset_x
      - .offset:         80
        .size:           8
        .value_kind:     hidden_global_offset_y
      - .offset:         88
        .size:           8
        .value_kind:     hidden_global_offset_z
      - .offset:         96
        .size:           2
        .value_kind:     hidden_grid_dims
    .group_segment_fixed_size: 132
    .kernarg_segment_align: 8
    .kernarg_segment_size: 288
    .language:       OpenCL C
    .language_version:
      - 2
      - 0
    .max_flat_workgroup_size: 1024
    .name:           _Z32dynamic_scaled_int8_quant_kernelI12hip_bfloat16fEvPKT_PaPT0_i
    .private_segment_fixed_size: 0
    .sgpr_count:     18
    .sgpr_spill_count: 0
    .symbol:         _Z32dynamic_scaled_int8_quant_kernelI12hip_bfloat16fEvPKT_PaPT0_i.kd
    .uniform_work_group_size: 1
    .uses_dynamic_stack: false
    .vgpr_count:     17
    .vgpr_spill_count: 0
    .wavefront_size: 32
  - .args:
      - .actual_access:  read_only
        .address_space:  global
        .offset:         0
        .size:           8
        .value_kind:     global_buffer
      - .actual_access:  write_only
        .address_space:  global
        .offset:         8
        .size:           8
        .value_kind:     global_buffer
      - .address_space:  global
        .offset:         16
        .size:           8
        .value_kind:     global_buffer
      - .address_space:  global
        .offset:         24
        .size:           8
        .value_kind:     global_buffer
      - .offset:         32
        .size:           4
        .value_kind:     by_value
      - .offset:         40
        .size:           4
        .value_kind:     hidden_block_count_x
      - .offset:         44
        .size:           4
        .value_kind:     hidden_block_count_y
      - .offset:         48
        .size:           4
        .value_kind:     hidden_block_count_z
      - .offset:         52
        .size:           2
        .value_kind:     hidden_group_size_x
      - .offset:         54
        .size:           2
        .value_kind:     hidden_group_size_y
      - .offset:         56
        .size:           2
        .value_kind:     hidden_group_size_z
      - .offset:         58
        .size:           2
        .value_kind:     hidden_remainder_x
      - .offset:         60
        .size:           2
        .value_kind:     hidden_remainder_y
      - .offset:         62
        .size:           2
        .value_kind:     hidden_remainder_z
      - .offset:         80
        .size:           8
        .value_kind:     hidden_global_offset_x
      - .offset:         88
        .size:           8
        .value_kind:     hidden_global_offset_y
      - .offset:         96
        .size:           8
        .value_kind:     hidden_global_offset_z
      - .offset:         104
        .size:           2
        .value_kind:     hidden_grid_dims
    .group_segment_fixed_size: 136
    .kernarg_segment_align: 8
    .kernarg_segment_size: 296
    .language:       OpenCL C
    .language_version:
      - 2
      - 0
    .max_flat_workgroup_size: 1024
    .name:           _Z36dynamic_scaled_int8_azp_quant_kernelI12hip_bfloat16fiEvPKT_PaPT0_PT1_i
    .private_segment_fixed_size: 0
    .sgpr_count:     24
    .sgpr_spill_count: 0
    .symbol:         _Z36dynamic_scaled_int8_azp_quant_kernelI12hip_bfloat16fiEvPKT_PaPT0_PT1_i.kd
    .uniform_work_group_size: 1
    .uses_dynamic_stack: false
    .vgpr_count:     20
    .vgpr_spill_count: 0
    .wavefront_size: 32
  - .args:
      - .actual_access:  read_only
        .address_space:  global
        .offset:         0
        .size:           8
        .value_kind:     global_buffer
      - .actual_access:  write_only
        .address_space:  global
        .offset:         8
        .size:           8
        .value_kind:     global_buffer
      - .offset:         16
        .size:           4
        .value_kind:     by_value
      - .offset:         20
        .size:           4
        .value_kind:     by_value
      - .offset:         24
        .size:           4
        .value_kind:     hidden_block_count_x
      - .offset:         28
        .size:           4
        .value_kind:     hidden_block_count_y
      - .offset:         32
        .size:           4
        .value_kind:     hidden_block_count_z
      - .offset:         36
        .size:           2
        .value_kind:     hidden_group_size_x
      - .offset:         38
        .size:           2
        .value_kind:     hidden_group_size_y
      - .offset:         40
        .size:           2
        .value_kind:     hidden_group_size_z
      - .offset:         42
        .size:           2
        .value_kind:     hidden_remainder_x
      - .offset:         44
        .size:           2
        .value_kind:     hidden_remainder_y
      - .offset:         46
        .size:           2
        .value_kind:     hidden_remainder_z
      - .offset:         64
        .size:           8
        .value_kind:     hidden_global_offset_x
      - .offset:         72
        .size:           8
        .value_kind:     hidden_global_offset_y
      - .offset:         80
        .size:           8
        .value_kind:     hidden_global_offset_z
      - .offset:         88
        .size:           2
        .value_kind:     hidden_grid_dims
    .group_segment_fixed_size: 0
    .kernarg_segment_align: 8
    .kernarg_segment_size: 280
    .language:       OpenCL C
    .language_version:
      - 2
      - 0
    .max_flat_workgroup_size: 1024
    .name:           _Z31static_scaled_int8_quant_kernelIffEvPKT_PaT0_i
    .private_segment_fixed_size: 0
    .sgpr_count:     15
    .sgpr_spill_count: 0
    .symbol:         _Z31static_scaled_int8_quant_kernelIffEvPKT_PaT0_i.kd
    .uniform_work_group_size: 1
    .uses_dynamic_stack: false
    .vgpr_count:     7
    .vgpr_spill_count: 0
    .wavefront_size: 32
  - .args:
      - .actual_access:  read_only
        .address_space:  global
        .offset:         0
        .size:           8
        .value_kind:     global_buffer
      - .actual_access:  write_only
        .address_space:  global
        .offset:         8
        .size:           8
        .value_kind:     global_buffer
      - .offset:         16
        .size:           4
        .value_kind:     by_value
      - .offset:         20
        .size:           4
        .value_kind:     by_value
      - .offset:         24
        .size:           4
        .value_kind:     by_value
      - .offset:         32
        .size:           4
        .value_kind:     hidden_block_count_x
      - .offset:         36
        .size:           4
        .value_kind:     hidden_block_count_y
      - .offset:         40
        .size:           4
        .value_kind:     hidden_block_count_z
      - .offset:         44
        .size:           2
        .value_kind:     hidden_group_size_x
      - .offset:         46
        .size:           2
        .value_kind:     hidden_group_size_y
      - .offset:         48
        .size:           2
        .value_kind:     hidden_group_size_z
      - .offset:         50
        .size:           2
        .value_kind:     hidden_remainder_x
      - .offset:         52
        .size:           2
        .value_kind:     hidden_remainder_y
      - .offset:         54
        .size:           2
        .value_kind:     hidden_remainder_z
      - .offset:         72
        .size:           8
        .value_kind:     hidden_global_offset_x
      - .offset:         80
        .size:           8
        .value_kind:     hidden_global_offset_y
      - .offset:         88
        .size:           8
        .value_kind:     hidden_global_offset_z
      - .offset:         96
        .size:           2
        .value_kind:     hidden_grid_dims
    .group_segment_fixed_size: 0
    .kernarg_segment_align: 8
    .kernarg_segment_size: 288
    .language:       OpenCL C
    .language_version:
      - 2
      - 0
    .max_flat_workgroup_size: 1024
    .name:           _Z35static_scaled_int8_azp_quant_kernelIffiEvPKT_PaT0_T1_i
    .private_segment_fixed_size: 0
    .sgpr_count:     16
    .sgpr_spill_count: 0
    .symbol:         _Z35static_scaled_int8_azp_quant_kernelIffiEvPKT_PaT0_T1_i.kd
    .uniform_work_group_size: 1
    .uses_dynamic_stack: false
    .vgpr_count:     7
    .vgpr_spill_count: 0
    .wavefront_size: 32
  - .args:
      - .actual_access:  read_only
        .address_space:  global
        .offset:         0
        .size:           8
        .value_kind:     global_buffer
      - .actual_access:  write_only
        .address_space:  global
        .offset:         8
        .size:           8
        .value_kind:     global_buffer
      - .address_space:  global
        .offset:         16
        .size:           8
        .value_kind:     global_buffer
      - .offset:         24
        .size:           4
        .value_kind:     by_value
      - .offset:         32
        .size:           4
        .value_kind:     hidden_block_count_x
      - .offset:         36
        .size:           4
        .value_kind:     hidden_block_count_y
      - .offset:         40
        .size:           4
        .value_kind:     hidden_block_count_z
      - .offset:         44
        .size:           2
        .value_kind:     hidden_group_size_x
      - .offset:         46
        .size:           2
        .value_kind:     hidden_group_size_y
      - .offset:         48
        .size:           2
        .value_kind:     hidden_group_size_z
      - .offset:         50
        .size:           2
        .value_kind:     hidden_remainder_x
      - .offset:         52
        .size:           2
        .value_kind:     hidden_remainder_y
      - .offset:         54
        .size:           2
        .value_kind:     hidden_remainder_z
      - .offset:         72
        .size:           8
        .value_kind:     hidden_global_offset_x
      - .offset:         80
        .size:           8
        .value_kind:     hidden_global_offset_y
      - .offset:         88
        .size:           8
        .value_kind:     hidden_global_offset_z
      - .offset:         96
        .size:           2
        .value_kind:     hidden_grid_dims
    .group_segment_fixed_size: 132
    .kernarg_segment_align: 8
    .kernarg_segment_size: 288
    .language:       OpenCL C
    .language_version:
      - 2
      - 0
    .max_flat_workgroup_size: 1024
    .name:           _Z32dynamic_scaled_int8_quant_kernelIffEvPKT_PaPT0_i
    .private_segment_fixed_size: 0
    .sgpr_count:     18
    .sgpr_spill_count: 0
    .symbol:         _Z32dynamic_scaled_int8_quant_kernelIffEvPKT_PaPT0_i.kd
    .uniform_work_group_size: 1
    .uses_dynamic_stack: false
    .vgpr_count:     17
    .vgpr_spill_count: 0
    .wavefront_size: 32
  - .args:
      - .actual_access:  read_only
        .address_space:  global
        .offset:         0
        .size:           8
        .value_kind:     global_buffer
      - .actual_access:  write_only
        .address_space:  global
        .offset:         8
        .size:           8
        .value_kind:     global_buffer
      - .address_space:  global
        .offset:         16
        .size:           8
        .value_kind:     global_buffer
      - .address_space:  global
        .offset:         24
        .size:           8
        .value_kind:     global_buffer
      - .offset:         32
        .size:           4
        .value_kind:     by_value
      - .offset:         40
        .size:           4
        .value_kind:     hidden_block_count_x
      - .offset:         44
        .size:           4
        .value_kind:     hidden_block_count_y
      - .offset:         48
        .size:           4
        .value_kind:     hidden_block_count_z
      - .offset:         52
        .size:           2
        .value_kind:     hidden_group_size_x
      - .offset:         54
        .size:           2
        .value_kind:     hidden_group_size_y
      - .offset:         56
        .size:           2
        .value_kind:     hidden_group_size_z
      - .offset:         58
        .size:           2
        .value_kind:     hidden_remainder_x
      - .offset:         60
        .size:           2
        .value_kind:     hidden_remainder_y
      - .offset:         62
        .size:           2
        .value_kind:     hidden_remainder_z
      - .offset:         80
        .size:           8
        .value_kind:     hidden_global_offset_x
      - .offset:         88
        .size:           8
        .value_kind:     hidden_global_offset_y
      - .offset:         96
        .size:           8
        .value_kind:     hidden_global_offset_z
      - .offset:         104
        .size:           2
        .value_kind:     hidden_grid_dims
    .group_segment_fixed_size: 136
    .kernarg_segment_align: 8
    .kernarg_segment_size: 296
    .language:       OpenCL C
    .language_version:
      - 2
      - 0
    .max_flat_workgroup_size: 1024
    .name:           _Z36dynamic_scaled_int8_azp_quant_kernelIffiEvPKT_PaPT0_PT1_i
    .private_segment_fixed_size: 0
    .sgpr_count:     24
    .sgpr_spill_count: 0
    .symbol:         _Z36dynamic_scaled_int8_azp_quant_kernelIffiEvPKT_PaPT0_PT1_i.kd
    .uniform_work_group_size: 1
    .uses_dynamic_stack: false
    .vgpr_count:     20
    .vgpr_spill_count: 0
    .wavefront_size: 32
amdhsa.target:   amdgcn-amd-amdhsa--gfx1250
amdhsa.version:
  - 1
  - 2
...

	.end_amdgpu_metadata
